;; amdgpu-corpus repo=ROCm/rocFFT kind=compiled arch=gfx1201 opt=O3
	.text
	.amdgcn_target "amdgcn-amd-amdhsa--gfx1201"
	.amdhsa_code_object_version 6
	.protected	bluestein_single_back_len357_dim1_dp_op_CI_CI ; -- Begin function bluestein_single_back_len357_dim1_dp_op_CI_CI
	.globl	bluestein_single_back_len357_dim1_dp_op_CI_CI
	.p2align	8
	.type	bluestein_single_back_len357_dim1_dp_op_CI_CI,@function
bluestein_single_back_len357_dim1_dp_op_CI_CI: ; @bluestein_single_back_len357_dim1_dp_op_CI_CI
; %bb.0:
	s_load_b128 s[12:15], s[0:1], 0x28
	v_mul_u32_u24_e32 v1, 0xf10, v0
	s_mov_b32 s2, exec_lo
	s_delay_alu instid0(VALU_DEP_1) | instskip(NEXT) | instid1(VALU_DEP_1)
	v_lshrrev_b32_e32 v1, 16, v1
	v_mad_co_u64_u32 v[143:144], null, ttmp9, 11, v[1:2]
	v_mov_b32_e32 v144, 0
	s_wait_kmcnt 0x0
	s_delay_alu instid0(VALU_DEP_1)
	v_cmpx_gt_u64_e64 s[12:13], v[143:144]
	s_cbranch_execz .LBB0_15
; %bb.1:
	s_clause 0x1
	s_load_b128 s[4:7], s[0:1], 0x18
	s_load_b64 s[12:13], s[0:1], 0x0
	v_mul_lo_u16 v1, v1, 17
	v_mul_hi_u32 v69, 0xba2e8ba3, v143
	s_delay_alu instid0(VALU_DEP_2) | instskip(NEXT) | instid1(VALU_DEP_2)
	v_sub_nc_u16 v4, v0, v1
	v_lshrrev_b32_e32 v69, 3, v69
	s_delay_alu instid0(VALU_DEP_2) | instskip(NEXT) | instid1(VALU_DEP_2)
	v_and_b32_e32 v176, 0xffff, v4
	v_mul_lo_u32 v69, v69, 11
	s_wait_kmcnt 0x0
	s_load_b128 s[8:11], s[4:5], 0x0
	s_delay_alu instid0(VALU_DEP_1) | instskip(SKIP_4) | instid1(VALU_DEP_1)
	v_sub_nc_u32_e32 v69, v143, v69
	s_wait_kmcnt 0x0
	v_mad_co_u64_u32 v[0:1], null, s10, v143, 0
	v_mad_co_u64_u32 v[2:3], null, s8, v176, 0
	s_mul_u64 s[2:3], s[8:9], 21
	v_mad_co_u64_u32 v[5:6], null, s11, v143, v[1:2]
	s_delay_alu instid0(VALU_DEP_1) | instskip(NEXT) | instid1(VALU_DEP_3)
	v_mov_b32_e32 v1, v5
	v_mad_co_u64_u32 v[6:7], null, s9, v176, v[3:4]
	v_lshlrev_b32_e32 v70, 4, v176
	s_delay_alu instid0(VALU_DEP_3) | instskip(NEXT) | instid1(VALU_DEP_3)
	v_lshlrev_b64_e32 v[0:1], 4, v[0:1]
	v_mov_b32_e32 v3, v6
	s_clause 0xb
	global_load_b128 v[169:172], v70, s[12:13]
	global_load_b128 v[185:188], v70, s[12:13] offset:336
	global_load_b128 v[181:184], v70, s[12:13] offset:672
	global_load_b128 v[193:196], v70, s[12:13] offset:1008
	global_load_b128 v[197:200], v70, s[12:13] offset:1344
	global_load_b128 v[205:208], v70, s[12:13] offset:1680
	global_load_b128 v[145:148], v70, s[12:13] offset:2016
	global_load_b128 v[149:152], v70, s[12:13] offset:2352
	global_load_b128 v[153:156], v70, s[12:13] offset:2688
	global_load_b128 v[157:160], v70, s[12:13] offset:3024
	global_load_b128 v[161:164], v70, s[12:13] offset:3360
	global_load_b128 v[165:168], v70, s[12:13] offset:3696
	v_lshlrev_b64_e32 v[5:6], 4, v[2:3]
	v_add_co_u32 v2, vcc_lo, s14, v0
	v_add_co_ci_u32_e32 v3, vcc_lo, s15, v1, vcc_lo
	s_lshl_b64 s[14:15], s[2:3], 4
	s_delay_alu instid0(VALU_DEP_2) | instskip(SKIP_1) | instid1(VALU_DEP_2)
	v_add_co_u32 v0, vcc_lo, v2, v5
	s_wait_alu 0xfffd
	v_add_co_ci_u32_e32 v1, vcc_lo, v3, v6, vcc_lo
	s_clause 0x1
	global_load_b128 v[177:180], v70, s[12:13] offset:4032
	global_load_b128 v[189:192], v70, s[12:13] offset:4368
	s_wait_alu 0xfffe
	v_add_co_u32 v9, vcc_lo, v0, s14
	s_wait_alu 0xfffd
	v_add_co_ci_u32_e32 v10, vcc_lo, s15, v1, vcc_lo
	s_delay_alu instid0(VALU_DEP_2) | instskip(SKIP_1) | instid1(VALU_DEP_2)
	v_add_co_u32 v13, vcc_lo, v9, s14
	s_wait_alu 0xfffd
	v_add_co_ci_u32_e32 v14, vcc_lo, s15, v10, vcc_lo
	s_clause 0x1
	global_load_b128 v[5:8], v[0:1], off
	global_load_b128 v[9:12], v[9:10], off
	v_add_co_u32 v17, vcc_lo, v13, s14
	s_wait_alu 0xfffd
	v_add_co_ci_u32_e32 v18, vcc_lo, s15, v14, vcc_lo
	s_delay_alu instid0(VALU_DEP_2) | instskip(SKIP_1) | instid1(VALU_DEP_2)
	v_add_co_u32 v0, vcc_lo, v17, s14
	s_wait_alu 0xfffd
	v_add_co_ci_u32_e32 v1, vcc_lo, s15, v18, vcc_lo
	s_clause 0x1
	global_load_b128 v[13:16], v[13:14], off
	global_load_b128 v[17:20], v[17:18], off
	v_add_co_u32 v25, vcc_lo, v0, s14
	s_wait_alu 0xfffd
	v_add_co_ci_u32_e32 v26, vcc_lo, s15, v1, vcc_lo
	global_load_b128 v[21:24], v[0:1], off
	v_add_co_u32 v0, vcc_lo, v25, s14
	s_wait_alu 0xfffd
	v_add_co_ci_u32_e32 v1, vcc_lo, s15, v26, vcc_lo
	;; [unrolled: 4-line block ×12, first 2 shown]
	s_clause 0x1
	global_load_b128 v[213:216], v70, s[12:13] offset:4704
	global_load_b128 v[209:212], v70, s[12:13] offset:5040
	global_load_b128 v[65:68], v[65:66], off
	global_load_b128 v[201:204], v70, s[12:13] offset:5376
	global_load_b128 v[71:74], v[0:1], off
	v_cmp_gt_u16_e32 vcc_lo, 4, v4
	v_or_b32_e32 v4, 0x50, v176
	s_wait_loadcnt 0x1f
	s_clause 0x2
	scratch_store_b128 off, v[181:184], off offset:356
	scratch_store_b128 off, v[169:172], off offset:324
	;; [unrolled: 1-line block ×3, first 2 shown]
	s_wait_loadcnt 0x1e
	scratch_store_b128 off, v[193:196], off offset:404 ; 16-byte Folded Spill
	s_wait_loadcnt 0x1d
	scratch_store_b128 off, v[197:200], off offset:420 ; 16-byte Folded Spill
	;; [unrolled: 2-line block ×7, first 2 shown]
	s_wait_loadcnt 0x16
	s_clause 0x1
	scratch_store_b128 off, v[165:168], off offset:308
	scratch_store_b128 off, v[145:148], off offset:228
	s_wait_loadcnt 0x15
	scratch_store_b128 off, v[177:180], off offset:340 ; 16-byte Folded Spill
	s_wait_loadcnt 0x14
	scratch_store_b128 off, v[189:192], off offset:388 ; 16-byte Folded Spill
	s_wait_loadcnt 0x13
	v_mul_f64_e32 v[75:76], v[7:8], v[171:172]
	v_mul_f64_e32 v[77:78], v[5:6], v[171:172]
	s_wait_loadcnt 0x12
	v_mul_f64_e32 v[79:80], v[11:12], v[187:188]
	v_mul_f64_e32 v[81:82], v[9:10], v[187:188]
	;; [unrolled: 3-line block ×9, first 2 shown]
	v_fma_f64 v[5:6], v[5:6], v[169:170], v[75:76]
	v_fma_f64 v[7:8], v[7:8], v[169:170], -v[77:78]
	v_fma_f64 v[9:10], v[9:10], v[185:186], v[79:80]
	s_wait_loadcnt 0xa
	v_mul_f64_e32 v[111:112], v[43:44], v[159:160]
	v_mul_f64_e32 v[113:114], v[41:42], v[159:160]
	v_fma_f64 v[11:12], v[11:12], v[185:186], -v[81:82]
	s_wait_loadcnt 0x9
	v_mul_f64_e32 v[115:116], v[47:48], v[163:164]
	v_mul_f64_e32 v[117:118], v[45:46], v[163:164]
	v_fma_f64 v[13:14], v[13:14], v[181:182], v[83:84]
	v_fma_f64 v[15:16], v[15:16], v[181:182], -v[85:86]
	v_fma_f64 v[17:18], v[17:18], v[193:194], v[87:88]
	s_wait_loadcnt 0x8
	v_mul_f64_e32 v[119:120], v[51:52], v[167:168]
	v_mul_f64_e32 v[121:122], v[49:50], v[167:168]
	v_fma_f64 v[19:20], v[19:20], v[193:194], -v[89:90]
	v_fma_f64 v[21:22], v[21:22], v[197:198], v[91:92]
	v_fma_f64 v[23:24], v[23:24], v[197:198], -v[93:94]
	s_wait_loadcnt 0x7
	v_mul_f64_e32 v[123:124], v[55:56], v[179:180]
	v_mul_f64_e32 v[125:126], v[53:54], v[179:180]
	v_fma_f64 v[25:26], v[25:26], v[205:206], v[95:96]
	v_fma_f64 v[27:28], v[27:28], v[205:206], -v[97:98]
	s_wait_loadcnt 0x6
	v_mul_f64_e32 v[127:128], v[59:60], v[191:192]
	v_mul_f64_e32 v[129:130], v[57:58], v[191:192]
	;; [unrolled: 5-line block ×3, first 2 shown]
	s_wait_loadcnt 0x2
	v_mul_f64_e32 v[135:136], v[67:68], v[211:212]
	v_mul_f64_e32 v[137:138], v[65:66], v[211:212]
	s_wait_loadcnt 0x0
	v_mul_f64_e32 v[139:140], v[73:74], v[203:204]
	v_mul_f64_e32 v[141:142], v[71:72], v[203:204]
	v_fma_f64 v[33:34], v[33:34], v[149:150], v[103:104]
	v_fma_f64 v[35:36], v[35:36], v[149:150], -v[105:106]
	v_fma_f64 v[37:38], v[37:38], v[153:154], v[107:108]
	v_fma_f64 v[39:40], v[39:40], v[153:154], -v[109:110]
	s_clause 0x1
	scratch_store_b128 off, v[213:216], off offset:484
	scratch_store_b128 off, v[209:212], off offset:468
	v_fma_f64 v[41:42], v[41:42], v[157:158], v[111:112]
	v_fma_f64 v[43:44], v[43:44], v[157:158], -v[113:114]
	scratch_store_b128 off, v[201:204], off offset:436 ; 16-byte Folded Spill
	v_fma_f64 v[45:46], v[45:46], v[161:162], v[115:116]
	v_fma_f64 v[47:48], v[47:48], v[161:162], -v[117:118]
	v_fma_f64 v[49:50], v[49:50], v[165:166], v[119:120]
	v_fma_f64 v[51:52], v[51:52], v[165:166], -v[121:122]
	;; [unrolled: 2-line block ×7, first 2 shown]
	v_mul_u32_u24_e32 v65, 0x165, v69
	v_mov_b32_e32 v144, v143
	scratch_store_b32 off, v65, off offset:808 ; 4-byte Folded Spill
	v_lshlrev_b32_e32 v65, 4, v65
	scratch_store_b64 off, v[144:145], off offset:220 ; 8-byte Folded Spill
	s_load_b64 s[10:11], s[0:1], 0x38
	s_load_b128 s[4:7], s[6:7], 0x0
	v_add_nc_u32_e32 v99, v70, v65
	v_add_co_u32 v65, s2, s12, v70
	s_delay_alu instid0(VALU_DEP_1)
	v_add_co_ci_u32_e64 v66, null, s13, 0, s2
	scratch_store_b64 off, v[65:66], off    ; 8-byte Folded Spill
	ds_store_b128 v99, v[5:8]
	ds_store_b128 v99, v[9:12] offset:336
	ds_store_b128 v99, v[13:16] offset:672
	;; [unrolled: 1-line block ×11, first 2 shown]
	scratch_store_b32 off, v4, off offset:836 ; 4-byte Folded Spill
	v_or_b32_e32 v4, 0xa4, v176
	scratch_store_b32 off, v4, off offset:832 ; 4-byte Folded Spill
	v_or_b32_e32 v4, 0xf8, v176
	;; [unrolled: 2-line block ×3, first 2 shown]
	scratch_store_b32 off, v4, off offset:824 ; 4-byte Folded Spill
	ds_store_b128 v99, v[53:56] offset:4032
	ds_store_b128 v99, v[57:60] offset:4368
	;; [unrolled: 1-line block ×5, first 2 shown]
	s_and_saveexec_b32 s3, vcc_lo
	s_cbranch_execz .LBB0_3
; %bb.2:
	scratch_load_b64 v[68:69], off, off     ; 8-byte Folded Reload
	v_or_b32_e32 v6, 0x50, v176
	v_mad_co_u64_u32 v[0:1], null, 0xffffec10, s8, v[0:1]
	s_mul_i32 s2, s9, 0xffffec10
	v_or_b32_e32 v25, 0xa4, v176
	s_delay_alu instid0(VALU_DEP_3)
	v_mad_co_u64_u32 v[20:21], null, s8, v6, 0
	s_wait_alu 0xfffe
	s_sub_co_i32 s2, s2, s8
	s_mul_u64 s[16:17], s[8:9], 0x2a0
	v_mad_co_u64_u32 v[40:41], null, s8, v25, 0
	v_or_b32_e32 v62, 0xf8, v176
	s_wait_alu 0xfffe
	s_delay_alu instid0(VALU_DEP_3) | instskip(SKIP_1) | instid1(VALU_DEP_3)
	v_dual_mov_b32 v4, v21 :: v_dual_add_nc_u32 v1, s2, v1
	v_add_co_u32 v22, s2, v0, s14
	v_mad_co_u64_u32 v[79:80], null, s8, v62, 0
	s_delay_alu instid0(VALU_DEP_3)
	v_mad_co_u64_u32 v[12:13], null, s9, v6, v[4:5]
	s_wait_alu 0xf1ff
	v_add_co_ci_u32_e64 v23, s2, s15, v1, s2
	v_or_b32_e32 v77, 0x14c, v176
	v_mov_b32_e32 v24, v41
	s_wait_loadcnt 0x0
	s_clause 0x1
	global_load_b128 v[4:7], v[68:69], off offset:272
	global_load_b128 v[8:11], v[68:69], off offset:608
	v_mov_b32_e32 v21, v12
	global_load_b128 v[12:15], v[0:1], off
	global_load_b128 v[16:19], v[22:23], off
	v_mad_co_u64_u32 v[41:42], null, s9, v25, v[24:25]
	v_mad_co_u64_u32 v[91:92], null, s8, v77, 0
	v_lshlrev_b64_e32 v[0:1], 4, v[20:21]
	v_add_co_u32 v20, s2, v22, s14
	s_wait_alu 0xf1ff
	v_add_co_ci_u32_e64 v21, s2, s15, v23, s2
	v_lshlrev_b64_e32 v[40:41], 4, v[40:41]
	s_delay_alu instid0(VALU_DEP_4)
	v_add_co_u32 v0, s2, v2, v0
	s_wait_alu 0xf1ff
	v_add_co_ci_u32_e64 v1, s2, v3, v1, s2
	v_add_co_u32 v42, s2, v20, s16
	s_wait_alu 0xf1ff
	v_add_co_ci_u32_e64 v43, s2, s17, v21, s2
	global_load_b128 v[20:23], v[20:21], off
	global_load_b128 v[24:27], v[0:1], off
	s_clause 0x1
	global_load_b128 v[28:31], v[68:69], off offset:944
	global_load_b128 v[32:35], v[68:69], off offset:1280
	global_load_b128 v[36:39], v[42:43], off
	v_add_co_u32 v0, s2, v42, s14
	s_wait_alu 0xf1ff
	v_add_co_ci_u32_e64 v1, s2, s15, v43, s2
	s_delay_alu instid0(VALU_DEP_2) | instskip(SKIP_1) | instid1(VALU_DEP_2)
	v_add_co_u32 v60, s2, v0, s14
	s_wait_alu 0xf1ff
	v_add_co_ci_u32_e64 v61, s2, s15, v1, s2
	v_add_co_u32 v56, s2, v2, v40
	s_wait_alu 0xf1ff
	v_add_co_ci_u32_e64 v57, s2, v3, v41, s2
	global_load_b128 v[40:43], v[0:1], off
	s_clause 0x1
	global_load_b128 v[44:47], v[68:69], off offset:1616
	global_load_b128 v[48:51], v[68:69], off offset:1952
	global_load_b128 v[52:55], v[60:61], off
	global_load_b128 v[56:59], v[56:57], off
	v_mov_b32_e32 v0, v80
	v_add_co_u32 v75, s2, v60, s16
	s_wait_alu 0xf1ff
	v_add_co_ci_u32_e64 v76, s2, s17, v61, s2
	s_delay_alu instid0(VALU_DEP_3)
	v_mad_co_u64_u32 v[0:1], null, s9, v62, v[0:1]
	v_mov_b32_e32 v1, v92
	s_clause 0x1
	global_load_b128 v[60:63], v[68:69], off offset:2288
	global_load_b128 v[64:67], v[68:69], off offset:2624
	global_load_b128 v[71:74], v[75:76], off
	v_add_co_u32 v75, s2, v75, s14
	s_wait_alu 0xf1ff
	v_add_co_ci_u32_e64 v76, s2, s15, v76, s2
	v_mov_b32_e32 v80, v0
	v_mad_co_u64_u32 v[0:1], null, s9, v77, v[1:2]
	v_add_co_u32 v93, s2, v75, s14
	s_delay_alu instid0(VALU_DEP_3)
	v_lshlrev_b64_e32 v[95:96], 4, v[79:80]
	s_wait_alu 0xf1ff
	v_add_co_ci_u32_e64 v94, s2, s15, v76, s2
	global_load_b128 v[75:78], v[75:76], off
	v_mov_b32_e32 v92, v0
	s_clause 0x1
	global_load_b128 v[79:82], v[68:69], off offset:2960
	global_load_b128 v[83:86], v[68:69], off offset:3296
	global_load_b128 v[87:90], v[93:94], off
	v_add_co_u32 v0, s2, v2, v95
	s_wait_alu 0xf1ff
	v_add_co_ci_u32_e64 v1, s2, v3, v96, s2
	v_lshlrev_b64_e32 v[91:92], 4, v[91:92]
	v_add_co_u32 v112, s2, v93, s16
	s_wait_alu 0xf1ff
	v_add_co_ci_u32_e64 v113, s2, s17, v94, s2
	s_delay_alu instid0(VALU_DEP_3)
	v_add_co_u32 v104, s2, v2, v91
	s_wait_alu 0xf1ff
	v_add_co_ci_u32_e64 v105, s2, v3, v92, s2
	v_add_co_u32 v116, s2, v112, s14
	s_wait_alu 0xf1ff
	v_add_co_ci_u32_e64 v117, s2, s15, v113, s2
	global_load_b128 v[0:3], v[0:1], off
	s_clause 0x1
	global_load_b128 v[91:94], v[68:69], off offset:3632
	global_load_b128 v[95:98], v[68:69], off offset:3968
	global_load_b128 v[100:103], v[112:113], off
	global_load_b128 v[104:107], v[104:105], off
	global_load_b128 v[108:111], v[68:69], off offset:5312
	v_add_co_u32 v128, s2, v116, s14
	s_wait_alu 0xf1ff
	v_add_co_ci_u32_e64 v129, s2, s15, v117, s2
	global_load_b128 v[112:115], v[68:69], off offset:4304
	global_load_b128 v[116:119], v[116:117], off
	v_add_co_u32 v136, s2, v128, s16
	s_wait_alu 0xf1ff
	v_add_co_ci_u32_e64 v137, s2, s17, v129, s2
	s_clause 0x1
	global_load_b128 v[120:123], v[68:69], off offset:4640
	global_load_b128 v[124:127], v[68:69], off offset:4976
	global_load_b128 v[128:131], v[128:129], off
	global_load_b128 v[132:135], v[68:69], off offset:5648
	global_load_b128 v[136:139], v[136:137], off
	s_wait_loadcnt 0x1f
	v_mul_f64_e32 v[140:141], v[14:15], v[6:7]
	v_mul_f64_e32 v[6:7], v[12:13], v[6:7]
	s_wait_loadcnt 0x1e
	v_mul_f64_e32 v[142:143], v[18:19], v[10:11]
	v_mul_f64_e32 v[144:145], v[16:17], v[10:11]
	;; [unrolled: 3-line block ×6, first 2 shown]
	v_fma_f64 v[10:11], v[12:13], v[4:5], v[140:141]
	v_fma_f64 v[12:13], v[14:15], v[4:5], -v[6:7]
	v_fma_f64 v[4:5], v[16:17], v[8:9], v[142:143]
	s_wait_loadcnt 0x13
	v_mul_f64_e32 v[160:161], v[54:55], v[62:63]
	v_mul_f64_e32 v[62:63], v[52:53], v[62:63]
	s_wait_loadcnt 0x12
	v_mul_f64_e32 v[154:155], v[58:59], v[66:67]
	v_mul_f64_e32 v[66:67], v[56:57], v[66:67]
	v_fma_f64 v[6:7], v[18:19], v[8:9], -v[144:145]
	s_wait_loadcnt 0xf
	v_mul_f64_e32 v[162:163], v[73:74], v[81:82]
	v_mul_f64_e32 v[81:82], v[71:72], v[81:82]
	s_wait_loadcnt 0xe
	v_mul_f64_e32 v[164:165], v[77:78], v[85:86]
	v_mul_f64_e32 v[85:86], v[75:76], v[85:86]
	v_fma_f64 v[14:15], v[20:21], v[28:29], v[146:147]
	v_fma_f64 v[16:17], v[22:23], v[28:29], -v[30:31]
	v_fma_f64 v[22:23], v[24:25], v[32:33], v[152:153]
	v_fma_f64 v[24:25], v[26:27], v[32:33], -v[34:35]
	v_fma_f64 v[18:19], v[36:37], v[44:45], v[148:149]
	v_fma_f64 v[20:21], v[38:39], v[44:45], -v[46:47]
	v_fma_f64 v[28:29], v[40:41], v[48:49], v[150:151]
	v_fma_f64 v[30:31], v[42:43], v[48:49], -v[50:51]
	s_wait_loadcnt 0xb
	v_mul_f64_e32 v[166:167], v[89:90], v[93:94]
	v_mul_f64_e32 v[93:94], v[87:88], v[93:94]
	s_wait_loadcnt 0xa
	v_mul_f64_e32 v[156:157], v[2:3], v[97:98]
	v_mul_f64_e32 v[97:98], v[0:1], v[97:98]
	;; [unrolled: 3-line block ×3, first 2 shown]
	v_fma_f64 v[40:41], v[52:53], v[60:61], v[160:161]
	v_fma_f64 v[42:43], v[54:55], v[60:61], -v[62:63]
	v_fma_f64 v[32:33], v[56:57], v[64:65], v[154:155]
	s_wait_loadcnt 0x6
	v_mul_f64_e32 v[168:169], v[102:103], v[114:115]
	v_mul_f64_e32 v[114:115], v[100:101], v[114:115]
	s_wait_loadcnt 0x4
	v_mul_f64_e32 v[170:171], v[118:119], v[122:123]
	v_mul_f64_e32 v[122:123], v[116:117], v[122:123]
	;; [unrolled: 3-line block ×4, first 2 shown]
	v_fma_f64 v[34:35], v[58:59], v[64:65], -v[66:67]
	v_fma_f64 v[44:45], v[71:72], v[79:80], v[162:163]
	v_fma_f64 v[46:47], v[73:74], v[79:80], -v[81:82]
	v_fma_f64 v[48:49], v[75:76], v[83:84], v[164:165]
	;; [unrolled: 2-line block ×9, first 2 shown]
	v_fma_f64 v[73:74], v[138:139], v[132:133], -v[134:135]
	ds_store_b128 v99, v[10:13] offset:272
	ds_store_b128 v99, v[4:7] offset:608
	;; [unrolled: 1-line block ×17, first 2 shown]
.LBB0_3:
	s_wait_alu 0xfffe
	s_or_b32 exec_lo, exec_lo, s3
	scratch_store_b32 off, v176, off offset:8 ; 4-byte Folded Spill
	global_wb scope:SCOPE_SE
	s_wait_storecnt_dscnt 0x0
	s_wait_kmcnt 0x0
	s_barrier_signal -1
	s_barrier_wait -1
	global_inv scope:SCOPE_SE
	ds_load_b128 v[0:3], v99
	ds_load_b128 v[4:7], v99 offset:336
	ds_load_b128 v[8:11], v99 offset:672
	;; [unrolled: 1-line block ×16, first 2 shown]
	s_load_b64 s[0:1], s[0:1], 0x8
                                        ; implicit-def: $vgpr100_vgpr101
                                        ; implicit-def: $vgpr108_vgpr109
                                        ; implicit-def: $vgpr112_vgpr113
                                        ; implicit-def: $vgpr124_vgpr125
                                        ; implicit-def: $vgpr144_vgpr145
                                        ; implicit-def: $vgpr156_vgpr157
                                        ; implicit-def: $vgpr176_vgpr177
                                        ; implicit-def: $vgpr184_vgpr185
                                        ; implicit-def: $vgpr180_vgpr181
                                        ; implicit-def: $vgpr172_vgpr173
                                        ; implicit-def: $vgpr168_vgpr169
                                        ; implicit-def: $vgpr148_vgpr149
                                        ; implicit-def: $vgpr140_vgpr141
                                        ; implicit-def: $vgpr132_vgpr133
                                        ; implicit-def: $vgpr120_vgpr121
                                        ; implicit-def: $vgpr116_vgpr117
                                        ; implicit-def: $vgpr128_vgpr129
	s_and_saveexec_b32 s2, vcc_lo
	s_cbranch_execz .LBB0_5
; %bb.4:
	ds_load_b128 v[100:103], v99 offset:272
	ds_load_b128 v[108:111], v99 offset:608
	ds_load_b128 v[112:115], v99 offset:944
	ds_load_b128 v[124:127], v99 offset:1280
	ds_load_b128 v[144:147], v99 offset:1616
	ds_load_b128 v[156:159], v99 offset:1952
	ds_load_b128 v[176:179], v99 offset:2288
	ds_load_b128 v[184:187], v99 offset:2624
	ds_load_b128 v[180:183], v99 offset:2960
	ds_load_b128 v[172:175], v99 offset:3296
	ds_load_b128 v[168:171], v99 offset:3632
	ds_load_b128 v[148:151], v99 offset:3968
	ds_load_b128 v[140:143], v99 offset:4304
	ds_load_b128 v[132:135], v99 offset:4640
	ds_load_b128 v[120:123], v99 offset:4976
	ds_load_b128 v[116:119], v99 offset:5312
	ds_load_b128 v[128:131], v99 offset:5648
.LBB0_5:
	s_wait_alu 0xfffe
	s_or_b32 exec_lo, exec_lo, s2
	s_wait_dscnt 0xf
	v_add_f64_e32 v[71:72], v[0:1], v[4:5]
	v_add_f64_e32 v[73:74], v[2:3], v[6:7]
	s_wait_dscnt 0x7
	v_add_f64_e64 v[77:78], v[66:67], -v[62:63]
	v_add_f64_e64 v[75:76], v[64:65], -v[60:61]
	s_wait_dscnt 0x5
	v_add_f64_e64 v[104:105], v[44:45], -v[48:49]
	v_add_f64_e64 v[106:107], v[46:47], -v[50:51]
	s_wait_dscnt 0x4
	v_add_f64_e32 v[83:84], v[32:33], v[40:41]
	v_add_f64_e32 v[85:86], v[34:35], v[42:43]
	v_add_f64_e64 v[136:137], v[32:33], -v[40:41]
	v_add_f64_e64 v[138:139], v[34:35], -v[42:43]
	s_wait_dscnt 0x3
	v_add_f64_e32 v[87:88], v[24:25], v[36:37]
	v_add_f64_e32 v[89:90], v[26:27], v[38:39]
	;; [unrolled: 5-line block ×4, first 2 shown]
	v_add_f64_e64 v[164:165], v[8:9], -v[20:21]
	v_add_f64_e64 v[166:167], v[10:11], -v[22:23]
	s_mov_b32 s36, 0x5d8e7cdc
	s_mov_b32 s40, 0x2a9d6da3
	;; [unrolled: 1-line block ×16, first 2 shown]
	v_add_f64_e32 v[71:72], v[71:72], v[8:9]
	v_add_f64_e32 v[73:74], v[73:74], v[10:11]
	s_mov_b32 s24, 0x370991
	s_mov_b32 s22, 0x75d4884
	;; [unrolled: 1-line block ×32, first 2 shown]
	s_wait_dscnt 0x0
	v_add_f64_e32 v[246:247], v[108:109], v[128:129]
	v_add_f64_e32 v[250:251], v[110:111], v[130:131]
	v_add_f64_e64 v[228:229], v[126:127], -v[122:123]
	v_add_f64_e64 v[232:233], v[124:125], -v[120:121]
	v_add_f64_e32 v[71:72], v[71:72], v[16:17]
	v_add_f64_e32 v[73:74], v[73:74], v[18:19]
	v_add_f64_e64 v[236:237], v[146:147], -v[134:135]
	v_add_f64_e64 v[240:241], v[144:145], -v[132:133]
	v_add_f64_e64 v[68:69], v[158:159], -v[142:143]
	v_add_f64_e64 v[244:245], v[156:157], -v[140:141]
	v_add_f64_e32 v[226:227], v[158:159], v[142:143]
	v_add_f64_e64 v[248:249], v[176:177], -v[148:149]
	v_add_f64_e32 v[234:235], v[178:179], v[150:151]
	v_add_f64_e64 v[252:253], v[186:187], -v[170:171]
	v_add_f64_e64 v[254:255], v[184:185], -v[168:169]
	v_add_f64_e32 v[238:239], v[186:187], v[170:171]
	v_add_f64_e32 v[230:231], v[180:181], v[172:173]
	;; [unrolled: 1-line block ×5, first 2 shown]
	s_delay_alu instid0(VALU_DEP_2) | instskip(NEXT) | instid1(VALU_DEP_2)
	v_add_f64_e32 v[71:72], v[71:72], v[32:33]
	v_add_f64_e32 v[73:74], v[73:74], v[34:35]
	s_delay_alu instid0(VALU_DEP_2) | instskip(NEXT) | instid1(VALU_DEP_2)
	v_add_f64_e32 v[71:72], v[71:72], v[44:45]
	v_add_f64_e32 v[73:74], v[73:74], v[46:47]
	;; [unrolled: 3-line block ×4, first 2 shown]
	v_add_f64_e32 v[64:65], v[64:65], v[60:61]
	v_add_f64_e32 v[66:67], v[66:67], v[62:63]
	s_delay_alu instid0(VALU_DEP_4) | instskip(NEXT) | instid1(VALU_DEP_4)
	v_add_f64_e32 v[79:80], v[71:72], v[60:61]
	v_add_f64_e32 v[81:82], v[73:74], v[62:63]
	;; [unrolled: 1-line block ×4, first 2 shown]
	v_add_f64_e64 v[60:61], v[52:53], -v[56:57]
	v_add_f64_e64 v[62:63], v[54:55], -v[58:59]
	v_add_f64_e32 v[52:53], v[79:80], v[56:57]
	v_add_f64_e32 v[54:55], v[81:82], v[58:59]
	;; [unrolled: 1-line block ×4, first 2 shown]
	s_delay_alu instid0(VALU_DEP_4) | instskip(NEXT) | instid1(VALU_DEP_4)
	v_add_f64_e32 v[44:45], v[52:53], v[48:49]
	v_add_f64_e32 v[46:47], v[54:55], v[50:51]
	s_delay_alu instid0(VALU_DEP_2) | instskip(NEXT) | instid1(VALU_DEP_2)
	v_add_f64_e32 v[32:33], v[44:45], v[40:41]
	v_add_f64_e32 v[34:35], v[46:47], v[42:43]
	s_delay_alu instid0(VALU_DEP_2) | instskip(NEXT) | instid1(VALU_DEP_2)
	v_add_f64_e32 v[24:25], v[32:33], v[36:37]
	v_add_f64_e32 v[26:27], v[34:35], v[38:39]
	s_delay_alu instid0(VALU_DEP_2) | instskip(NEXT) | instid1(VALU_DEP_2)
	v_add_f64_e32 v[16:17], v[24:25], v[28:29]
	v_add_f64_e32 v[18:19], v[26:27], v[30:31]
	s_delay_alu instid0(VALU_DEP_2) | instskip(NEXT) | instid1(VALU_DEP_2)
	v_add_f64_e32 v[8:9], v[16:17], v[20:21]
	v_add_f64_e32 v[10:11], v[18:19], v[22:23]
	v_add_f64_e64 v[16:17], v[6:7], -v[14:15]
	v_add_f64_e32 v[18:19], v[4:5], v[12:13]
	v_add_f64_e32 v[20:21], v[6:7], v[14:15]
	v_add_f64_e64 v[22:23], v[4:5], -v[12:13]
	v_add_f64_e32 v[4:5], v[8:9], v[12:13]
	v_add_f64_e32 v[6:7], v[10:11], v[14:15]
	v_mul_f64_e32 v[8:9], s[36:37], v[16:17]
	v_mul_f64_e32 v[10:11], s[40:41], v[16:17]
	;; [unrolled: 1-line block ×13, first 2 shown]
	scratch_store_b128 off, v[4:7], off offset:500 ; 16-byte Folded Spill
	v_fma_f64 v[30:31], v[18:19], s[24:25], -v[8:9]
	v_fma_f64 v[8:9], v[18:19], s[24:25], v[8:9]
	v_fma_f64 v[32:33], v[18:19], s[22:23], -v[10:11]
	v_fma_f64 v[10:11], v[18:19], s[22:23], v[10:11]
	;; [unrolled: 2-line block ×4, first 2 shown]
	s_wait_alu 0xfffe
	v_fma_f64 v[38:39], v[18:19], s[16:17], -v[24:25]
	v_fma_f64 v[24:25], v[18:19], s[16:17], v[24:25]
	v_fma_f64 v[44:45], v[18:19], s[14:15], -v[26:27]
	v_fma_f64 v[26:27], v[18:19], s[14:15], v[26:27]
	;; [unrolled: 2-line block ×4, first 2 shown]
	v_mul_f64_e32 v[18:19], s[36:37], v[22:23]
	v_mul_f64_e32 v[28:29], s[40:41], v[22:23]
	;; [unrolled: 1-line block ×3, first 2 shown]
	v_fma_f64 v[190:191], v[20:21], s[20:21], v[40:41]
	v_fma_f64 v[40:41], v[20:21], s[20:21], -v[40:41]
	v_fma_f64 v[192:193], v[20:21], s[18:19], v[42:43]
	v_fma_f64 v[42:43], v[20:21], s[18:19], -v[42:43]
	;; [unrolled: 2-line block ×5, first 2 shown]
	v_add_f64_e32 v[206:207], v[0:1], v[30:31]
	v_add_f64_e32 v[210:211], v[0:1], v[8:9]
	;; [unrolled: 1-line block ×7, first 2 shown]
	v_mul_f64_e32 v[14:15], s[42:43], v[162:163]
	v_add_f64_e32 v[50:51], v[0:1], v[26:27]
	v_mul_f64_e32 v[26:27], s[38:39], v[152:153]
	v_fma_f64 v[54:55], v[20:21], s[24:25], v[18:19]
	v_fma_f64 v[58:59], v[20:21], s[22:23], v[28:29]
	v_fma_f64 v[18:19], v[20:21], s[24:25], -v[18:19]
	v_fma_f64 v[28:29], v[20:21], s[22:23], -v[28:29]
	v_fma_f64 v[202:203], v[20:21], s[2:3], v[22:23]
	v_fma_f64 v[204:205], v[20:21], s[2:3], -v[22:23]
	v_add_f64_e32 v[22:23], v[0:1], v[12:13]
	v_add_f64_e32 v[20:21], v[2:3], v[40:41]
	;; [unrolled: 1-line block ×13, first 2 shown]
	v_mul_f64_e32 v[12:13], s[40:41], v[164:165]
	v_mul_f64_e32 v[16:17], s[42:43], v[160:161]
	v_mul_f64_e32 v[24:25], s[38:39], v[154:155]
	v_mul_f64_e32 v[196:197], s[26:27], v[138:139]
	v_fma_f64 v[10:11], v[91:92], s[20:21], -v[14:15]
	v_fma_f64 v[14:15], v[91:92], s[20:21], v[14:15]
	v_add_f64_e32 v[208:209], v[2:3], v[54:55]
	v_add_f64_e32 v[214:215], v[2:3], v[58:59]
	;; [unrolled: 1-line block ×4, first 2 shown]
	v_mul_f64_e32 v[0:1], s[40:41], v[166:167]
	v_add_f64_e32 v[18:19], v[2:3], v[18:19]
	v_add_f64_e32 v[218:219], v[2:3], v[28:29]
	;; [unrolled: 1-line block ×7, first 2 shown]
	v_mul_f64_e32 v[198:199], s[26:27], v[136:137]
	v_mul_f64_e32 v[200:201], s[28:29], v[106:107]
	v_mul_f64_e32 v[202:203], s[28:29], v[104:105]
	v_mul_f64_e32 v[204:205], s[30:31], v[62:63]
	v_fma_f64 v[8:9], v[97:98], s[22:23], v[12:13]
	v_fma_f64 v[12:13], v[97:98], s[22:23], -v[12:13]
	v_fma_f64 v[2:3], v[95:96], s[22:23], -v[0:1]
	v_fma_f64 v[0:1], v[95:96], s[22:23], v[0:1]
	s_delay_alu instid0(VALU_DEP_4) | instskip(NEXT) | instid1(VALU_DEP_4)
	v_add_f64_e32 v[8:9], v[8:9], v[208:209]
	v_add_f64_e32 v[12:13], v[12:13], v[18:19]
	v_mul_f64_e32 v[208:209], s[34:35], v[77:78]
	v_add_f64_e32 v[2:3], v[2:3], v[206:207]
	v_add_f64_e32 v[0:1], v[0:1], v[210:211]
	v_mul_f64_e32 v[206:207], s[30:31], v[60:61]
	v_mul_f64_e32 v[210:211], s[44:45], v[62:63]
	s_delay_alu instid0(VALU_DEP_4) | instskip(SKIP_3) | instid1(VALU_DEP_3)
	v_add_f64_e32 v[2:3], v[10:11], v[2:3]
	v_fma_f64 v[10:11], v[93:94], s[20:21], v[16:17]
	v_add_f64_e32 v[0:1], v[14:15], v[0:1]
	v_fma_f64 v[14:15], v[93:94], s[20:21], -v[16:17]
	v_add_f64_e32 v[8:9], v[10:11], v[8:9]
	v_fma_f64 v[10:11], v[87:88], s[18:19], -v[24:25]
	s_delay_alu instid0(VALU_DEP_3) | instskip(SKIP_2) | instid1(VALU_DEP_4)
	v_add_f64_e32 v[12:13], v[14:15], v[12:13]
	v_fma_f64 v[14:15], v[87:88], s[18:19], v[24:25]
	v_mul_f64_e32 v[24:25], s[38:39], v[164:165]
	v_add_f64_e32 v[2:3], v[10:11], v[2:3]
	v_fma_f64 v[10:11], v[89:90], s[18:19], v[26:27]
	s_delay_alu instid0(VALU_DEP_4)
	v_add_f64_e32 v[0:1], v[14:15], v[0:1]
	v_fma_f64 v[14:15], v[89:90], s[18:19], -v[26:27]
	v_mul_f64_e32 v[26:27], s[28:29], v[162:163]
	v_fma_f64 v[16:17], v[97:98], s[18:19], v[24:25]
	v_fma_f64 v[24:25], v[97:98], s[18:19], -v[24:25]
	v_add_f64_e32 v[8:9], v[10:11], v[8:9]
	v_fma_f64 v[10:11], v[83:84], s[16:17], -v[196:197]
	v_add_f64_e32 v[12:13], v[14:15], v[12:13]
	v_fma_f64 v[14:15], v[83:84], s[16:17], v[196:197]
	v_fma_f64 v[18:19], v[91:92], s[14:15], -v[26:27]
	v_mul_f64_e32 v[196:197], s[28:29], v[160:161]
	v_add_f64_e32 v[16:17], v[16:17], v[214:215]
	v_fma_f64 v[26:27], v[91:92], s[14:15], v[26:27]
	v_add_f64_e32 v[24:25], v[24:25], v[218:219]
	v_mul_f64_e32 v[214:215], s[46:47], v[77:78]
	v_add_f64_e32 v[2:3], v[10:11], v[2:3]
	v_fma_f64 v[10:11], v[85:86], s[16:17], v[198:199]
	v_add_f64_e32 v[0:1], v[14:15], v[0:1]
	v_fma_f64 v[14:15], v[85:86], s[16:17], -v[198:199]
	v_mul_f64_e32 v[198:199], s[34:35], v[154:155]
	s_delay_alu instid0(VALU_DEP_4) | instskip(SKIP_1) | instid1(VALU_DEP_4)
	v_add_f64_e32 v[8:9], v[10:11], v[8:9]
	v_fma_f64 v[10:11], v[79:80], s[14:15], -v[200:201]
	v_add_f64_e32 v[12:13], v[14:15], v[12:13]
	v_fma_f64 v[14:15], v[79:80], s[14:15], v[200:201]
	v_mul_f64_e32 v[200:201], s[34:35], v[152:153]
	s_delay_alu instid0(VALU_DEP_4) | instskip(SKIP_1) | instid1(VALU_DEP_4)
	v_add_f64_e32 v[2:3], v[10:11], v[2:3]
	v_fma_f64 v[10:11], v[81:82], s[14:15], v[202:203]
	v_add_f64_e32 v[0:1], v[14:15], v[0:1]
	v_fma_f64 v[14:15], v[81:82], s[14:15], -v[202:203]
	v_mul_f64_e32 v[202:203], s[52:53], v[138:139]
	s_delay_alu instid0(VALU_DEP_4) | instskip(SKIP_1) | instid1(VALU_DEP_4)
	v_add_f64_e32 v[8:9], v[10:11], v[8:9]
	v_fma_f64 v[10:11], v[71:72], s[8:9], -v[204:205]
	v_add_f64_e32 v[12:13], v[14:15], v[12:13]
	v_fma_f64 v[14:15], v[71:72], s[8:9], v[204:205]
	v_mul_f64_e32 v[204:205], s[52:53], v[136:137]
	s_delay_alu instid0(VALU_DEP_4) | instskip(SKIP_1) | instid1(VALU_DEP_4)
	;; [unrolled: 12-line block ×3, first 2 shown]
	v_add_f64_e32 v[8:9], v[8:9], v[2:3]
	v_mul_f64_e32 v[2:3], s[34:35], v[75:76]
	v_add_f64_e32 v[0:1], v[14:15], v[0:1]
	s_delay_alu instid0(VALU_DEP_2) | instskip(SKIP_1) | instid1(VALU_DEP_2)
	v_fma_f64 v[224:225], v[66:67], s[2:3], v[2:3]
	v_fma_f64 v[2:3], v[66:67], s[2:3], -v[2:3]
	v_add_f64_e32 v[10:11], v[224:225], v[10:11]
	s_delay_alu instid0(VALU_DEP_2) | instskip(SKIP_1) | instid1(VALU_DEP_1)
	v_add_f64_e32 v[2:3], v[2:3], v[12:13]
	v_mul_f64_e32 v[12:13], s[38:39], v[166:167]
	v_fma_f64 v[14:15], v[95:96], s[18:19], -v[12:13]
	v_fma_f64 v[12:13], v[95:96], s[18:19], v[12:13]
	s_delay_alu instid0(VALU_DEP_2) | instskip(NEXT) | instid1(VALU_DEP_2)
	v_add_f64_e32 v[14:15], v[14:15], v[212:213]
	v_add_f64_e32 v[12:13], v[12:13], v[216:217]
	v_mul_f64_e32 v[212:213], s[44:45], v[60:61]
	s_delay_alu instid0(VALU_DEP_3) | instskip(SKIP_1) | instid1(VALU_DEP_4)
	v_add_f64_e32 v[14:15], v[18:19], v[14:15]
	v_fma_f64 v[18:19], v[93:94], s[14:15], v[196:197]
	v_add_f64_e32 v[12:13], v[26:27], v[12:13]
	v_fma_f64 v[26:27], v[93:94], s[14:15], -v[196:197]
	v_mul_f64_e32 v[196:197], s[28:29], v[166:167]
	s_delay_alu instid0(VALU_DEP_4) | instskip(SKIP_1) | instid1(VALU_DEP_4)
	v_add_f64_e32 v[16:17], v[18:19], v[16:17]
	v_fma_f64 v[18:19], v[87:88], s[2:3], -v[198:199]
	v_add_f64_e32 v[24:25], v[26:27], v[24:25]
	v_fma_f64 v[26:27], v[87:88], s[2:3], v[198:199]
	v_mul_f64_e32 v[198:199], s[28:29], v[164:165]
	s_delay_alu instid0(VALU_DEP_4) | instskip(SKIP_1) | instid1(VALU_DEP_4)
	v_add_f64_e32 v[14:15], v[18:19], v[14:15]
	v_fma_f64 v[18:19], v[89:90], s[2:3], v[200:201]
	v_add_f64_e32 v[12:13], v[26:27], v[12:13]
	v_fma_f64 v[26:27], v[89:90], s[2:3], -v[200:201]
	v_mul_f64_e32 v[200:201], s[58:59], v[162:163]
	s_delay_alu instid0(VALU_DEP_4) | instskip(SKIP_1) | instid1(VALU_DEP_4)
	v_add_f64_e32 v[16:17], v[18:19], v[16:17]
	v_fma_f64 v[18:19], v[83:84], s[8:9], -v[202:203]
	v_add_f64_e32 v[24:25], v[26:27], v[24:25]
	v_fma_f64 v[26:27], v[83:84], s[8:9], v[202:203]
	v_fma_f64 v[202:203], v[91:92], s[2:3], -v[200:201]
	s_delay_alu instid0(VALU_DEP_4) | instskip(SKIP_1) | instid1(VALU_DEP_4)
	v_add_f64_e32 v[14:15], v[18:19], v[14:15]
	v_fma_f64 v[18:19], v[85:86], s[8:9], v[204:205]
	v_add_f64_e32 v[12:13], v[26:27], v[12:13]
	v_fma_f64 v[26:27], v[85:86], s[8:9], -v[204:205]
	s_delay_alu instid0(VALU_DEP_3) | instskip(SKIP_1) | instid1(VALU_DEP_3)
	v_add_f64_e32 v[16:17], v[18:19], v[16:17]
	v_fma_f64 v[18:19], v[79:80], s[16:17], -v[206:207]
	v_add_f64_e32 v[24:25], v[26:27], v[24:25]
	v_fma_f64 v[26:27], v[79:80], s[16:17], v[206:207]
	s_delay_alu instid0(VALU_DEP_3) | instskip(SKIP_1) | instid1(VALU_DEP_3)
	v_add_f64_e32 v[14:15], v[18:19], v[14:15]
	v_fma_f64 v[18:19], v[81:82], s[16:17], v[208:209]
	v_add_f64_e32 v[12:13], v[26:27], v[12:13]
	v_fma_f64 v[26:27], v[81:82], s[16:17], -v[208:209]
	s_delay_alu instid0(VALU_DEP_3) | instskip(SKIP_1) | instid1(VALU_DEP_3)
	v_add_f64_e32 v[16:17], v[18:19], v[16:17]
	v_fma_f64 v[18:19], v[71:72], s[20:21], -v[210:211]
	v_add_f64_e32 v[24:25], v[26:27], v[24:25]
	v_fma_f64 v[26:27], v[71:72], s[20:21], v[210:211]
	s_delay_alu instid0(VALU_DEP_3) | instskip(SKIP_1) | instid1(VALU_DEP_3)
	;; [unrolled: 10-line block ×3, first 2 shown]
	v_add_f64_e32 v[16:17], v[16:17], v[14:15]
	v_mul_f64_e32 v[14:15], s[46:47], v[75:76]
	v_add_f64_e32 v[12:13], v[26:27], v[12:13]
	v_fma_f64 v[26:27], v[97:98], s[14:15], v[198:199]
	s_delay_alu instid0(VALU_DEP_3) | instskip(SKIP_1) | instid1(VALU_DEP_3)
	v_fma_f64 v[224:225], v[66:67], s[24:25], v[14:15]
	v_fma_f64 v[14:15], v[66:67], s[24:25], -v[14:15]
	v_add_f64_e32 v[26:27], v[26:27], v[222:223]
	s_delay_alu instid0(VALU_DEP_3) | instskip(NEXT) | instid1(VALU_DEP_3)
	v_add_f64_e32 v[18:19], v[224:225], v[18:19]
	v_add_f64_e32 v[14:15], v[14:15], v[24:25]
	v_fma_f64 v[24:25], v[95:96], s[14:15], -v[196:197]
	v_fma_f64 v[196:197], v[95:96], s[14:15], v[196:197]
	s_delay_alu instid0(VALU_DEP_2) | instskip(NEXT) | instid1(VALU_DEP_2)
	v_add_f64_e32 v[24:25], v[24:25], v[220:221]
	v_add_f64_e32 v[22:23], v[196:197], v[22:23]
	v_fma_f64 v[196:197], v[97:98], s[14:15], -v[198:199]
	s_delay_alu instid0(VALU_DEP_3) | instskip(SKIP_1) | instid1(VALU_DEP_3)
	v_add_f64_e32 v[24:25], v[202:203], v[24:25]
	v_mul_f64_e32 v[202:203], s[58:59], v[160:161]
	v_add_f64_e32 v[20:21], v[196:197], v[20:21]
	v_fma_f64 v[196:197], v[91:92], s[2:3], v[200:201]
	s_delay_alu instid0(VALU_DEP_3) | instskip(NEXT) | instid1(VALU_DEP_2)
	v_fma_f64 v[204:205], v[93:94], s[2:3], v[202:203]
	v_add_f64_e32 v[22:23], v[196:197], v[22:23]
	v_fma_f64 v[196:197], v[93:94], s[2:3], -v[202:203]
	s_delay_alu instid0(VALU_DEP_3) | instskip(SKIP_1) | instid1(VALU_DEP_3)
	v_add_f64_e32 v[26:27], v[204:205], v[26:27]
	v_mul_f64_e32 v[204:205], s[50:51], v[154:155]
	v_add_f64_e32 v[20:21], v[196:197], v[20:21]
	s_delay_alu instid0(VALU_DEP_2) | instskip(SKIP_1) | instid1(VALU_DEP_2)
	v_fma_f64 v[206:207], v[87:88], s[16:17], -v[204:205]
	v_fma_f64 v[196:197], v[87:88], s[16:17], v[204:205]
	v_add_f64_e32 v[24:25], v[206:207], v[24:25]
	v_mul_f64_e32 v[206:207], s[50:51], v[152:153]
	s_delay_alu instid0(VALU_DEP_3) | instskip(NEXT) | instid1(VALU_DEP_2)
	v_add_f64_e32 v[22:23], v[196:197], v[22:23]
	v_fma_f64 v[208:209], v[89:90], s[16:17], v[206:207]
	v_fma_f64 v[196:197], v[89:90], s[16:17], -v[206:207]
	s_delay_alu instid0(VALU_DEP_2) | instskip(SKIP_1) | instid1(VALU_DEP_3)
	v_add_f64_e32 v[26:27], v[208:209], v[26:27]
	v_mul_f64_e32 v[208:209], s[48:49], v[138:139]
	v_add_f64_e32 v[20:21], v[196:197], v[20:21]
	s_delay_alu instid0(VALU_DEP_2) | instskip(SKIP_1) | instid1(VALU_DEP_2)
	v_fma_f64 v[210:211], v[83:84], s[22:23], -v[208:209]
	v_fma_f64 v[196:197], v[83:84], s[22:23], v[208:209]
	v_add_f64_e32 v[24:25], v[210:211], v[24:25]
	v_mul_f64_e32 v[210:211], s[48:49], v[136:137]
	s_delay_alu instid0(VALU_DEP_3) | instskip(NEXT) | instid1(VALU_DEP_2)
	v_add_f64_e32 v[22:23], v[196:197], v[22:23]
	v_fma_f64 v[212:213], v[85:86], s[22:23], v[210:211]
	v_fma_f64 v[196:197], v[85:86], s[22:23], -v[210:211]
	s_delay_alu instid0(VALU_DEP_2) | instskip(SKIP_1) | instid1(VALU_DEP_3)
	;; [unrolled: 13-line block ×4, first 2 shown]
	v_add_f64_e32 v[26:27], v[220:221], v[26:27]
	v_mul_f64_e32 v[220:221], s[30:31], v[77:78]
	v_add_f64_e32 v[196:197], v[196:197], v[20:21]
	s_delay_alu instid0(VALU_DEP_2) | instskip(SKIP_1) | instid1(VALU_DEP_2)
	v_fma_f64 v[222:223], v[64:65], s[8:9], -v[220:221]
	v_fma_f64 v[20:21], v[64:65], s[8:9], v[220:221]
	v_add_f64_e32 v[24:25], v[222:223], v[24:25]
	v_mul_f64_e32 v[222:223], s[30:31], v[75:76]
	s_delay_alu instid0(VALU_DEP_3) | instskip(NEXT) | instid1(VALU_DEP_2)
	v_add_f64_e32 v[20:21], v[20:21], v[22:23]
	v_fma_f64 v[198:199], v[66:67], s[8:9], -v[222:223]
	v_fma_f64 v[224:225], v[66:67], s[8:9], v[222:223]
	v_mul_f64_e32 v[222:223], s[48:49], v[77:78]
	s_delay_alu instid0(VALU_DEP_3) | instskip(SKIP_1) | instid1(VALU_DEP_4)
	v_add_f64_e32 v[22:23], v[198:199], v[196:197]
	v_mul_f64_e32 v[196:197], s[34:35], v[166:167]
	v_add_f64_e32 v[26:27], v[224:225], v[26:27]
	v_mul_f64_e32 v[224:225], s[48:49], v[75:76]
	s_delay_alu instid0(VALU_DEP_3) | instskip(SKIP_1) | instid1(VALU_DEP_2)
	v_fma_f64 v[198:199], v[95:96], s[2:3], -v[196:197]
	v_fma_f64 v[196:197], v[95:96], s[2:3], v[196:197]
	v_add_f64_e32 v[30:31], v[198:199], v[30:31]
	v_mul_f64_e32 v[198:199], s[34:35], v[164:165]
	s_delay_alu instid0(VALU_DEP_3) | instskip(NEXT) | instid1(VALU_DEP_2)
	v_add_f64_e32 v[34:35], v[196:197], v[34:35]
	v_fma_f64 v[200:201], v[97:98], s[2:3], v[198:199]
	v_fma_f64 v[196:197], v[97:98], s[2:3], -v[198:199]
	v_fma_f64 v[198:199], v[66:67], s[22:23], -v[224:225]
	s_delay_alu instid0(VALU_DEP_3) | instskip(SKIP_1) | instid1(VALU_DEP_4)
	v_add_f64_e32 v[28:29], v[200:201], v[28:29]
	v_mul_f64_e32 v[200:201], s[50:51], v[162:163]
	v_add_f64_e32 v[32:33], v[196:197], v[32:33]
	s_delay_alu instid0(VALU_DEP_2) | instskip(SKIP_1) | instid1(VALU_DEP_2)
	v_fma_f64 v[202:203], v[91:92], s[16:17], -v[200:201]
	v_fma_f64 v[196:197], v[91:92], s[16:17], v[200:201]
	v_add_f64_e32 v[30:31], v[202:203], v[30:31]
	v_mul_f64_e32 v[202:203], s[50:51], v[160:161]
	s_delay_alu instid0(VALU_DEP_3) | instskip(NEXT) | instid1(VALU_DEP_2)
	v_add_f64_e32 v[34:35], v[196:197], v[34:35]
	v_fma_f64 v[204:205], v[93:94], s[16:17], v[202:203]
	v_fma_f64 v[196:197], v[93:94], s[16:17], -v[202:203]
	s_delay_alu instid0(VALU_DEP_2) | instskip(SKIP_1) | instid1(VALU_DEP_3)
	v_add_f64_e32 v[28:29], v[204:205], v[28:29]
	v_mul_f64_e32 v[204:205], s[46:47], v[154:155]
	v_add_f64_e32 v[32:33], v[196:197], v[32:33]
	s_delay_alu instid0(VALU_DEP_2) | instskip(SKIP_1) | instid1(VALU_DEP_2)
	v_fma_f64 v[206:207], v[87:88], s[24:25], -v[204:205]
	v_fma_f64 v[196:197], v[87:88], s[24:25], v[204:205]
	v_add_f64_e32 v[30:31], v[206:207], v[30:31]
	v_mul_f64_e32 v[206:207], s[46:47], v[152:153]
	s_delay_alu instid0(VALU_DEP_3) | instskip(NEXT) | instid1(VALU_DEP_2)
	v_add_f64_e32 v[34:35], v[196:197], v[34:35]
	v_fma_f64 v[208:209], v[89:90], s[24:25], v[206:207]
	v_fma_f64 v[196:197], v[89:90], s[24:25], -v[206:207]
	s_delay_alu instid0(VALU_DEP_2) | instskip(SKIP_1) | instid1(VALU_DEP_3)
	;; [unrolled: 13-line block ×4, first 2 shown]
	v_add_f64_e32 v[28:29], v[216:217], v[28:29]
	v_mul_f64_e32 v[216:217], s[56:57], v[62:63]
	v_add_f64_e32 v[32:33], v[196:197], v[32:33]
	s_delay_alu instid0(VALU_DEP_2) | instskip(SKIP_1) | instid1(VALU_DEP_2)
	v_fma_f64 v[218:219], v[71:72], s[14:15], -v[216:217]
	v_fma_f64 v[196:197], v[71:72], s[14:15], v[216:217]
	v_add_f64_e32 v[30:31], v[218:219], v[30:31]
	v_mul_f64_e32 v[218:219], s[56:57], v[60:61]
	s_delay_alu instid0(VALU_DEP_3) | instskip(NEXT) | instid1(VALU_DEP_2)
	v_add_f64_e32 v[34:35], v[196:197], v[34:35]
	v_fma_f64 v[196:197], v[73:74], s[14:15], -v[218:219]
	v_fma_f64 v[220:221], v[73:74], s[14:15], v[218:219]
	s_delay_alu instid0(VALU_DEP_2) | instskip(SKIP_1) | instid1(VALU_DEP_3)
	v_add_f64_e32 v[196:197], v[196:197], v[32:33]
	v_fma_f64 v[32:33], v[64:65], s[22:23], v[222:223]
	v_add_f64_e32 v[220:221], v[220:221], v[28:29]
	v_fma_f64 v[28:29], v[64:65], s[22:23], -v[222:223]
	v_mul_f64_e32 v[222:223], s[28:29], v[77:78]
	s_delay_alu instid0(VALU_DEP_4)
	v_add_f64_e32 v[32:33], v[32:33], v[34:35]
	v_add_f64_e32 v[34:35], v[198:199], v[196:197]
	v_mul_f64_e32 v[196:197], s[52:53], v[166:167]
	v_add_f64_e32 v[28:29], v[28:29], v[30:31]
	v_fma_f64 v[30:31], v[66:67], s[22:23], v[224:225]
	v_mul_f64_e32 v[224:225], s[28:29], v[75:76]
	s_delay_alu instid0(VALU_DEP_4) | instskip(SKIP_1) | instid1(VALU_DEP_4)
	v_fma_f64 v[198:199], v[95:96], s[8:9], -v[196:197]
	v_fma_f64 v[196:197], v[95:96], s[8:9], v[196:197]
	v_add_f64_e32 v[30:31], v[30:31], v[220:221]
	s_delay_alu instid0(VALU_DEP_3) | instskip(SKIP_1) | instid1(VALU_DEP_4)
	v_add_f64_e32 v[42:43], v[198:199], v[42:43]
	v_mul_f64_e32 v[198:199], s[52:53], v[164:165]
	v_add_f64_e32 v[38:39], v[196:197], v[38:39]
	s_delay_alu instid0(VALU_DEP_2) | instskip(SKIP_2) | instid1(VALU_DEP_3)
	v_fma_f64 v[200:201], v[97:98], s[8:9], v[198:199]
	v_fma_f64 v[196:197], v[97:98], s[8:9], -v[198:199]
	v_fma_f64 v[198:199], v[66:67], s[14:15], -v[224:225]
	v_add_f64_e32 v[40:41], v[200:201], v[40:41]
	v_mul_f64_e32 v[200:201], s[48:49], v[162:163]
	s_delay_alu instid0(VALU_DEP_4) | instskip(NEXT) | instid1(VALU_DEP_2)
	v_add_f64_e32 v[36:37], v[196:197], v[36:37]
	v_fma_f64 v[202:203], v[91:92], s[22:23], -v[200:201]
	v_fma_f64 v[196:197], v[91:92], s[22:23], v[200:201]
	s_delay_alu instid0(VALU_DEP_2) | instskip(SKIP_1) | instid1(VALU_DEP_3)
	v_add_f64_e32 v[42:43], v[202:203], v[42:43]
	v_mul_f64_e32 v[202:203], s[48:49], v[160:161]
	v_add_f64_e32 v[38:39], v[196:197], v[38:39]
	s_delay_alu instid0(VALU_DEP_2) | instskip(SKIP_1) | instid1(VALU_DEP_2)
	v_fma_f64 v[204:205], v[93:94], s[22:23], v[202:203]
	v_fma_f64 v[196:197], v[93:94], s[22:23], -v[202:203]
	v_add_f64_e32 v[40:41], v[204:205], v[40:41]
	v_mul_f64_e32 v[204:205], s[42:43], v[154:155]
	s_delay_alu instid0(VALU_DEP_3) | instskip(NEXT) | instid1(VALU_DEP_2)
	v_add_f64_e32 v[36:37], v[196:197], v[36:37]
	v_fma_f64 v[206:207], v[87:88], s[20:21], -v[204:205]
	v_fma_f64 v[196:197], v[87:88], s[20:21], v[204:205]
	s_delay_alu instid0(VALU_DEP_2) | instskip(SKIP_1) | instid1(VALU_DEP_3)
	v_add_f64_e32 v[42:43], v[206:207], v[42:43]
	v_mul_f64_e32 v[206:207], s[42:43], v[152:153]
	v_add_f64_e32 v[38:39], v[196:197], v[38:39]
	s_delay_alu instid0(VALU_DEP_2) | instskip(SKIP_1) | instid1(VALU_DEP_2)
	v_fma_f64 v[208:209], v[89:90], s[20:21], v[206:207]
	v_fma_f64 v[196:197], v[89:90], s[20:21], -v[206:207]
	v_add_f64_e32 v[40:41], v[208:209], v[40:41]
	v_mul_f64_e32 v[208:209], s[34:35], v[138:139]
	s_delay_alu instid0(VALU_DEP_3) | instskip(NEXT) | instid1(VALU_DEP_2)
	;; [unrolled: 13-line block ×4, first 2 shown]
	v_add_f64_e32 v[36:37], v[196:197], v[36:37]
	v_fma_f64 v[218:219], v[71:72], s[24:25], -v[216:217]
	v_fma_f64 v[196:197], v[71:72], s[24:25], v[216:217]
	s_delay_alu instid0(VALU_DEP_2) | instskip(SKIP_1) | instid1(VALU_DEP_3)
	v_add_f64_e32 v[42:43], v[218:219], v[42:43]
	v_mul_f64_e32 v[218:219], s[36:37], v[60:61]
	v_add_f64_e32 v[38:39], v[196:197], v[38:39]
	s_delay_alu instid0(VALU_DEP_2) | instskip(SKIP_1) | instid1(VALU_DEP_2)
	v_fma_f64 v[196:197], v[73:74], s[24:25], -v[218:219]
	v_fma_f64 v[220:221], v[73:74], s[24:25], v[218:219]
	v_add_f64_e32 v[196:197], v[196:197], v[36:37]
	v_fma_f64 v[36:37], v[64:65], s[14:15], v[222:223]
	s_delay_alu instid0(VALU_DEP_3) | instskip(SKIP_2) | instid1(VALU_DEP_4)
	v_add_f64_e32 v[220:221], v[220:221], v[40:41]
	v_fma_f64 v[40:41], v[64:65], s[14:15], -v[222:223]
	v_mul_f64_e32 v[222:223], s[44:45], v[77:78]
	v_add_f64_e32 v[36:37], v[36:37], v[38:39]
	v_add_f64_e32 v[38:39], v[198:199], v[196:197]
	v_mul_f64_e32 v[196:197], s[50:51], v[166:167]
	v_add_f64_e32 v[40:41], v[40:41], v[42:43]
	v_fma_f64 v[42:43], v[66:67], s[14:15], v[224:225]
	v_mul_f64_e32 v[224:225], s[44:45], v[75:76]
	s_delay_alu instid0(VALU_DEP_4) | instskip(SKIP_1) | instid1(VALU_DEP_4)
	v_fma_f64 v[198:199], v[95:96], s[16:17], -v[196:197]
	v_fma_f64 v[196:197], v[95:96], s[16:17], v[196:197]
	v_add_f64_e32 v[42:43], v[42:43], v[220:221]
	s_delay_alu instid0(VALU_DEP_3) | instskip(SKIP_1) | instid1(VALU_DEP_4)
	v_add_f64_e32 v[46:47], v[198:199], v[46:47]
	v_mul_f64_e32 v[198:199], s[50:51], v[164:165]
	v_add_f64_e32 v[50:51], v[196:197], v[50:51]
	s_delay_alu instid0(VALU_DEP_2) | instskip(SKIP_2) | instid1(VALU_DEP_3)
	v_fma_f64 v[200:201], v[97:98], s[16:17], v[198:199]
	v_fma_f64 v[196:197], v[97:98], s[16:17], -v[198:199]
	v_fma_f64 v[198:199], v[66:67], s[20:21], -v[224:225]
	v_add_f64_e32 v[44:45], v[200:201], v[44:45]
	v_mul_f64_e32 v[200:201], s[36:37], v[162:163]
	s_delay_alu instid0(VALU_DEP_4) | instskip(NEXT) | instid1(VALU_DEP_2)
	v_add_f64_e32 v[48:49], v[196:197], v[48:49]
	v_fma_f64 v[202:203], v[91:92], s[24:25], -v[200:201]
	v_fma_f64 v[196:197], v[91:92], s[24:25], v[200:201]
	s_delay_alu instid0(VALU_DEP_2) | instskip(SKIP_1) | instid1(VALU_DEP_3)
	v_add_f64_e32 v[46:47], v[202:203], v[46:47]
	v_mul_f64_e32 v[202:203], s[36:37], v[160:161]
	v_add_f64_e32 v[50:51], v[196:197], v[50:51]
	s_delay_alu instid0(VALU_DEP_2) | instskip(SKIP_1) | instid1(VALU_DEP_2)
	v_fma_f64 v[204:205], v[93:94], s[24:25], v[202:203]
	v_fma_f64 v[196:197], v[93:94], s[24:25], -v[202:203]
	v_add_f64_e32 v[44:45], v[204:205], v[44:45]
	v_mul_f64_e32 v[204:205], s[30:31], v[154:155]
	s_delay_alu instid0(VALU_DEP_3) | instskip(NEXT) | instid1(VALU_DEP_2)
	v_add_f64_e32 v[48:49], v[196:197], v[48:49]
	v_fma_f64 v[206:207], v[87:88], s[8:9], -v[204:205]
	v_fma_f64 v[196:197], v[87:88], s[8:9], v[204:205]
	s_delay_alu instid0(VALU_DEP_2) | instskip(SKIP_1) | instid1(VALU_DEP_3)
	v_add_f64_e32 v[46:47], v[206:207], v[46:47]
	v_mul_f64_e32 v[206:207], s[30:31], v[152:153]
	v_add_f64_e32 v[50:51], v[196:197], v[50:51]
	s_delay_alu instid0(VALU_DEP_2) | instskip(SKIP_1) | instid1(VALU_DEP_2)
	v_fma_f64 v[208:209], v[89:90], s[8:9], v[206:207]
	v_fma_f64 v[196:197], v[89:90], s[8:9], -v[206:207]
	v_add_f64_e32 v[44:45], v[208:209], v[44:45]
	v_mul_f64_e32 v[208:209], s[54:55], v[138:139]
	s_delay_alu instid0(VALU_DEP_3) | instskip(NEXT) | instid1(VALU_DEP_2)
	;; [unrolled: 13-line block ×4, first 2 shown]
	v_add_f64_e32 v[48:49], v[196:197], v[48:49]
	v_fma_f64 v[218:219], v[71:72], s[2:3], -v[216:217]
	v_fma_f64 v[196:197], v[71:72], s[2:3], v[216:217]
	s_delay_alu instid0(VALU_DEP_2) | instskip(SKIP_1) | instid1(VALU_DEP_3)
	v_add_f64_e32 v[46:47], v[218:219], v[46:47]
	v_mul_f64_e32 v[218:219], s[34:35], v[60:61]
	v_add_f64_e32 v[50:51], v[196:197], v[50:51]
	s_delay_alu instid0(VALU_DEP_2) | instskip(SKIP_1) | instid1(VALU_DEP_2)
	v_fma_f64 v[196:197], v[73:74], s[2:3], -v[218:219]
	v_fma_f64 v[220:221], v[73:74], s[2:3], v[218:219]
	v_add_f64_e32 v[196:197], v[196:197], v[48:49]
	v_fma_f64 v[48:49], v[64:65], s[20:21], v[222:223]
	s_delay_alu instid0(VALU_DEP_3)
	v_add_f64_e32 v[220:221], v[220:221], v[44:45]
	v_fma_f64 v[44:45], v[64:65], s[20:21], -v[222:223]
	v_mul_f64_e32 v[222:223], s[26:27], v[77:78]
	v_mul_f64_e32 v[77:78], s[54:55], v[77:78]
	v_add_f64_e32 v[48:49], v[48:49], v[50:51]
	v_add_f64_e32 v[50:51], v[198:199], v[196:197]
	v_mul_f64_e32 v[196:197], s[44:45], v[166:167]
	v_add_f64_e32 v[44:45], v[44:45], v[46:47]
	v_fma_f64 v[46:47], v[66:67], s[20:21], v[224:225]
	v_mul_f64_e32 v[224:225], s[26:27], v[75:76]
	v_mul_f64_e32 v[166:167], s[46:47], v[166:167]
	;; [unrolled: 1-line block ×3, first 2 shown]
	v_fma_f64 v[198:199], v[95:96], s[20:21], -v[196:197]
	v_fma_f64 v[196:197], v[95:96], s[20:21], v[196:197]
	v_add_f64_e32 v[46:47], v[46:47], v[220:221]
	s_delay_alu instid0(VALU_DEP_3) | instskip(SKIP_1) | instid1(VALU_DEP_4)
	v_add_f64_e32 v[54:55], v[198:199], v[54:55]
	v_mul_f64_e32 v[198:199], s[44:45], v[164:165]
	v_add_f64_e32 v[58:59], v[196:197], v[58:59]
	v_mul_f64_e32 v[164:165], s[46:47], v[164:165]
	s_delay_alu instid0(VALU_DEP_3) | instskip(SKIP_2) | instid1(VALU_DEP_3)
	v_fma_f64 v[200:201], v[97:98], s[20:21], v[198:199]
	v_fma_f64 v[196:197], v[97:98], s[20:21], -v[198:199]
	v_fma_f64 v[198:199], v[66:67], s[16:17], -v[224:225]
	v_add_f64_e32 v[52:53], v[200:201], v[52:53]
	v_mul_f64_e32 v[200:201], s[38:39], v[162:163]
	s_delay_alu instid0(VALU_DEP_4) | instskip(SKIP_1) | instid1(VALU_DEP_3)
	v_add_f64_e32 v[56:57], v[196:197], v[56:57]
	v_mul_f64_e32 v[162:163], s[30:31], v[162:163]
	v_fma_f64 v[202:203], v[91:92], s[18:19], -v[200:201]
	v_fma_f64 v[196:197], v[91:92], s[18:19], v[200:201]
	s_delay_alu instid0(VALU_DEP_2) | instskip(SKIP_1) | instid1(VALU_DEP_3)
	v_add_f64_e32 v[54:55], v[202:203], v[54:55]
	v_mul_f64_e32 v[202:203], s[38:39], v[160:161]
	v_add_f64_e32 v[58:59], v[196:197], v[58:59]
	v_mul_f64_e32 v[160:161], s[30:31], v[160:161]
	s_delay_alu instid0(VALU_DEP_3) | instskip(SKIP_2) | instid1(VALU_DEP_3)
	v_fma_f64 v[204:205], v[93:94], s[18:19], v[202:203]
	v_fma_f64 v[196:197], v[93:94], s[18:19], -v[202:203]
	v_add_f64_e32 v[202:203], v[144:145], v[132:133]
	v_add_f64_e32 v[52:53], v[204:205], v[52:53]
	v_mul_f64_e32 v[204:205], s[56:57], v[154:155]
	s_delay_alu instid0(VALU_DEP_4) | instskip(SKIP_1) | instid1(VALU_DEP_3)
	v_add_f64_e32 v[56:57], v[196:197], v[56:57]
	v_mul_f64_e32 v[154:155], s[48:49], v[154:155]
	v_fma_f64 v[206:207], v[87:88], s[14:15], -v[204:205]
	v_fma_f64 v[196:197], v[87:88], s[14:15], v[204:205]
	v_mul_f64_e32 v[204:205], s[36:37], v[248:249]
	s_delay_alu instid0(VALU_DEP_3) | instskip(SKIP_1) | instid1(VALU_DEP_4)
	v_add_f64_e32 v[54:55], v[206:207], v[54:55]
	v_mul_f64_e32 v[206:207], s[56:57], v[152:153]
	v_add_f64_e32 v[58:59], v[196:197], v[58:59]
	v_mul_f64_e32 v[152:153], s[48:49], v[152:153]
	s_delay_alu instid0(VALU_DEP_3) | instskip(SKIP_2) | instid1(VALU_DEP_3)
	v_fma_f64 v[208:209], v[89:90], s[14:15], v[206:207]
	v_fma_f64 v[196:197], v[89:90], s[14:15], -v[206:207]
	v_add_f64_e32 v[206:207], v[126:127], v[122:123]
	v_add_f64_e32 v[52:53], v[208:209], v[52:53]
	v_mul_f64_e32 v[208:209], s[36:37], v[138:139]
	s_delay_alu instid0(VALU_DEP_4) | instskip(SKIP_1) | instid1(VALU_DEP_3)
	v_add_f64_e32 v[56:57], v[196:197], v[56:57]
	v_mul_f64_e32 v[138:139], s[28:29], v[138:139]
	v_fma_f64 v[210:211], v[83:84], s[24:25], -v[208:209]
	v_fma_f64 v[196:197], v[83:84], s[24:25], v[208:209]
	s_delay_alu instid0(VALU_DEP_2) | instskip(SKIP_1) | instid1(VALU_DEP_3)
	v_add_f64_e32 v[54:55], v[210:211], v[54:55]
	v_mul_f64_e32 v[210:211], s[36:37], v[136:137]
	v_add_f64_e32 v[58:59], v[196:197], v[58:59]
	v_mul_f64_e32 v[136:137], s[28:29], v[136:137]
	s_delay_alu instid0(VALU_DEP_3) | instskip(SKIP_2) | instid1(VALU_DEP_3)
	v_fma_f64 v[212:213], v[85:86], s[24:25], v[210:211]
	v_fma_f64 v[196:197], v[85:86], s[24:25], -v[210:211]
	v_add_f64_e32 v[210:211], v[156:157], v[140:141]
	v_add_f64_e32 v[52:53], v[212:213], v[52:53]
	v_mul_f64_e32 v[212:213], s[34:35], v[106:107]
	s_delay_alu instid0(VALU_DEP_4) | instskip(SKIP_1) | instid1(VALU_DEP_3)
	v_add_f64_e32 v[56:57], v[196:197], v[56:57]
	v_mul_f64_e32 v[106:107], s[44:45], v[106:107]
	v_fma_f64 v[214:215], v[79:80], s[2:3], -v[212:213]
	v_fma_f64 v[196:197], v[79:80], s[2:3], v[212:213]
	v_add_f64_e64 v[212:213], v[110:111], -v[130:131]
	s_delay_alu instid0(VALU_DEP_3) | instskip(SKIP_1) | instid1(VALU_DEP_4)
	v_add_f64_e32 v[54:55], v[214:215], v[54:55]
	v_mul_f64_e32 v[214:215], s[34:35], v[104:105]
	v_add_f64_e32 v[58:59], v[196:197], v[58:59]
	v_mul_f64_e32 v[104:105], s[44:45], v[104:105]
	v_mul_f64_e32 v[4:5], s[36:37], v[212:213]
	v_mul_f64_e32 v[200:201], s[42:43], v[212:213]
	v_fma_f64 v[216:217], v[81:82], s[2:3], v[214:215]
	v_fma_f64 v[196:197], v[81:82], s[2:3], -v[214:215]
	v_add_f64_e32 v[214:215], v[146:147], v[134:135]
	scratch_store_b64 off, v[4:5], off offset:740 ; 8-byte Folded Spill
	v_add_f64_e32 v[52:53], v[216:217], v[52:53]
	v_mul_f64_e32 v[216:217], s[48:49], v[62:63]
	v_add_f64_e32 v[56:57], v[196:197], v[56:57]
	s_delay_alu instid0(VALU_DEP_2) | instskip(SKIP_2) | instid1(VALU_DEP_3)
	v_fma_f64 v[218:219], v[71:72], s[22:23], -v[216:217]
	v_fma_f64 v[196:197], v[71:72], s[22:23], v[216:217]
	v_add_f64_e64 v[216:217], v[114:115], -v[118:119]
	v_add_f64_e32 v[54:55], v[218:219], v[54:55]
	v_mul_f64_e32 v[218:219], s[48:49], v[60:61]
	s_delay_alu instid0(VALU_DEP_4) | instskip(NEXT) | instid1(VALU_DEP_2)
	v_add_f64_e32 v[58:59], v[196:197], v[58:59]
	v_fma_f64 v[196:197], v[73:74], s[22:23], -v[218:219]
	v_fma_f64 v[220:221], v[73:74], s[22:23], v[218:219]
	v_add_f64_e32 v[218:219], v[176:177], v[148:149]
	s_delay_alu instid0(VALU_DEP_3) | instskip(SKIP_1) | instid1(VALU_DEP_4)
	v_add_f64_e32 v[196:197], v[196:197], v[56:57]
	v_fma_f64 v[56:57], v[64:65], s[16:17], v[222:223]
	v_add_f64_e32 v[220:221], v[220:221], v[52:53]
	v_fma_f64 v[52:53], v[64:65], s[16:17], -v[222:223]
	v_add_f64_e32 v[222:223], v[184:185], v[168:169]
	s_delay_alu instid0(VALU_DEP_4)
	v_add_f64_e32 v[56:57], v[56:57], v[58:59]
	v_add_f64_e32 v[58:59], v[198:199], v[196:197]
	v_fma_f64 v[196:197], v[95:96], s[24:25], -v[166:167]
	v_fma_f64 v[95:96], v[95:96], s[24:25], v[166:167]
	v_add_f64_e32 v[52:53], v[52:53], v[54:55]
	v_fma_f64 v[54:55], v[66:67], s[16:17], v[224:225]
	v_add_f64_e64 v[224:225], v[112:113], -v[116:117]
	v_add_f64_e32 v[198:199], v[114:115], v[118:119]
	v_mul_f64_e32 v[166:167], s[50:51], v[240:241]
	v_add_f64_e32 v[194:195], v[196:197], v[194:195]
	v_fma_f64 v[196:197], v[97:98], s[24:25], v[164:165]
	v_fma_f64 v[97:98], v[97:98], s[24:25], -v[164:165]
	v_add_f64_e32 v[95:96], v[95:96], v[188:189]
	v_add_f64_e32 v[54:55], v[54:55], v[220:221]
	v_add_f64_e64 v[220:221], v[108:109], -v[128:129]
	v_mul_f64_e32 v[164:165], s[58:59], v[232:233]
	v_add_f64_e32 v[192:193], v[196:197], v[192:193]
	v_fma_f64 v[196:197], v[91:92], s[8:9], -v[162:163]
	v_fma_f64 v[91:92], v[91:92], s[8:9], v[162:163]
	v_add_f64_e32 v[97:98], v[97:98], v[190:191]
	v_add_f64_e32 v[190:191], v[112:113], v[116:117]
	v_mul_f64_e32 v[208:209], s[42:43], v[220:221]
	v_add_f64_e32 v[194:195], v[196:197], v[194:195]
	v_fma_f64 v[196:197], v[93:94], s[8:9], v[160:161]
	v_fma_f64 v[93:94], v[93:94], s[8:9], -v[160:161]
	v_add_f64_e32 v[91:92], v[91:92], v[95:96]
	s_delay_alu instid0(VALU_DEP_3) | instskip(SKIP_4) | instid1(VALU_DEP_4)
	v_add_f64_e32 v[192:193], v[196:197], v[192:193]
	v_fma_f64 v[196:197], v[87:88], s[22:23], -v[154:155]
	v_fma_f64 v[87:88], v[87:88], s[22:23], v[154:155]
	v_add_f64_e32 v[93:94], v[93:94], v[97:98]
	v_mul_f64_e32 v[154:155], s[48:49], v[68:69]
	v_add_f64_e32 v[194:195], v[196:197], v[194:195]
	v_fma_f64 v[196:197], v[89:90], s[22:23], v[152:153]
	v_fma_f64 v[89:90], v[89:90], s[22:23], -v[152:153]
	v_add_f64_e32 v[87:88], v[87:88], v[91:92]
	s_delay_alu instid0(VALU_DEP_3) | instskip(SKIP_3) | instid1(VALU_DEP_3)
	v_add_f64_e32 v[192:193], v[196:197], v[192:193]
	v_fma_f64 v[196:197], v[83:84], s[14:15], -v[138:139]
	v_fma_f64 v[83:84], v[83:84], s[14:15], v[138:139]
	v_add_f64_e32 v[89:90], v[89:90], v[93:94]
	v_add_f64_e32 v[194:195], v[196:197], v[194:195]
	v_fma_f64 v[196:197], v[85:86], s[14:15], v[136:137]
	v_fma_f64 v[85:86], v[85:86], s[14:15], -v[136:137]
	v_add_f64_e32 v[83:84], v[83:84], v[87:88]
	s_delay_alu instid0(VALU_DEP_3) | instskip(SKIP_3) | instid1(VALU_DEP_3)
	v_add_f64_e32 v[192:193], v[196:197], v[192:193]
	v_fma_f64 v[196:197], v[79:80], s[20:21], -v[106:107]
	v_fma_f64 v[79:80], v[79:80], s[20:21], v[106:107]
	v_add_f64_e32 v[85:86], v[85:86], v[89:90]
	v_add_f64_e32 v[194:195], v[196:197], v[194:195]
	v_fma_f64 v[196:197], v[81:82], s[20:21], v[104:105]
	v_fma_f64 v[81:82], v[81:82], s[20:21], -v[104:105]
	v_add_f64_e32 v[79:80], v[79:80], v[83:84]
	v_mul_f64_e32 v[83:84], s[34:35], v[224:225]
	s_delay_alu instid0(VALU_DEP_4) | instskip(SKIP_2) | instid1(VALU_DEP_4)
	v_add_f64_e32 v[192:193], v[196:197], v[192:193]
	v_mul_f64_e32 v[196:197], s[26:27], v[62:63]
	v_add_f64_e32 v[81:82], v[81:82], v[85:86]
	v_fma_f64 v[85:86], v[198:199], s[2:3], v[83:84]
	s_delay_alu instid0(VALU_DEP_3) | instskip(SKIP_2) | instid1(VALU_DEP_3)
	v_fma_f64 v[62:63], v[71:72], s[16:17], -v[196:197]
	v_fma_f64 v[71:72], v[71:72], s[16:17], v[196:197]
	v_mul_f64_e32 v[196:197], s[38:39], v[254:255]
	v_add_f64_e32 v[62:63], v[62:63], v[194:195]
	v_mul_f64_e32 v[194:195], s[26:27], v[60:61]
	s_delay_alu instid0(VALU_DEP_4) | instskip(NEXT) | instid1(VALU_DEP_2)
	v_add_f64_e32 v[71:72], v[71:72], v[79:80]
	v_fma_f64 v[60:61], v[73:74], s[16:17], v[194:195]
	v_fma_f64 v[73:74], v[73:74], s[16:17], -v[194:195]
	v_add_f64_e32 v[194:195], v[124:125], v[120:121]
	s_delay_alu instid0(VALU_DEP_3) | instskip(SKIP_3) | instid1(VALU_DEP_3)
	v_add_f64_e32 v[192:193], v[60:61], v[192:193]
	v_fma_f64 v[60:61], v[64:65], s[18:19], -v[77:78]
	v_fma_f64 v[64:65], v[64:65], s[18:19], v[77:78]
	v_add_f64_e32 v[73:74], v[73:74], v[81:82]
	v_add_f64_e32 v[60:61], v[60:61], v[62:63]
	v_fma_f64 v[62:63], v[66:67], s[18:19], v[75:76]
	v_fma_f64 v[66:67], v[66:67], s[18:19], -v[75:76]
	v_add_f64_e32 v[64:65], v[64:65], v[71:72]
	v_fma_f64 v[71:72], v[246:247], s[24:25], v[4:5]
	v_mul_f64_e32 v[4:5], s[40:41], v[216:217]
	v_add_f64_e32 v[62:63], v[62:63], v[192:193]
	v_add_f64_e32 v[66:67], v[66:67], v[73:74]
	v_mul_f64_e32 v[192:193], s[48:49], v[244:245]
	v_add_f64_e32 v[71:72], v[100:101], v[71:72]
	scratch_store_b64 off, v[4:5], off offset:516 ; 8-byte Folded Spill
	v_fma_f64 v[73:74], v[190:191], s[22:23], v[4:5]
	v_mul_f64_e32 v[4:5], s[36:37], v[220:221]
	s_delay_alu instid0(VALU_DEP_2) | instskip(SKIP_3) | instid1(VALU_DEP_2)
	v_add_f64_e32 v[71:72], v[73:74], v[71:72]
	scratch_store_b64 off, v[4:5], off offset:756 ; 8-byte Folded Spill
	v_fma_f64 v[73:74], v[250:251], s[24:25], -v[4:5]
	v_mul_f64_e32 v[4:5], s[40:41], v[224:225]
	v_add_f64_e32 v[73:74], v[102:103], v[73:74]
	scratch_store_b64 off, v[4:5], off offset:548 ; 8-byte Folded Spill
	v_fma_f64 v[75:76], v[198:199], s[22:23], -v[4:5]
	v_mul_f64_e32 v[4:5], s[42:43], v[228:229]
	s_delay_alu instid0(VALU_DEP_2) | instskip(SKIP_3) | instid1(VALU_DEP_2)
	v_add_f64_e32 v[73:74], v[75:76], v[73:74]
	scratch_store_b64 off, v[4:5], off offset:532 ; 8-byte Folded Spill
	v_fma_f64 v[75:76], v[194:195], s[20:21], v[4:5]
	v_mul_f64_e32 v[4:5], s[42:43], v[232:233]
	v_add_f64_e32 v[71:72], v[75:76], v[71:72]
	scratch_store_b64 off, v[4:5], off offset:580 ; 8-byte Folded Spill
	v_fma_f64 v[75:76], v[206:207], s[20:21], -v[4:5]
	v_mul_f64_e32 v[4:5], s[38:39], v[236:237]
	s_delay_alu instid0(VALU_DEP_2) | instskip(SKIP_3) | instid1(VALU_DEP_2)
	v_add_f64_e32 v[73:74], v[75:76], v[73:74]
	scratch_store_b64 off, v[4:5], off offset:564 ; 8-byte Folded Spill
	v_fma_f64 v[75:76], v[202:203], s[18:19], v[4:5]
	;; [unrolled: 9-line block ×3, first 2 shown]
	v_mul_f64_e32 v[4:5], s[26:27], v[244:245]
	v_add_f64_e32 v[71:72], v[75:76], v[71:72]
	scratch_store_b64 off, v[4:5], off offset:660 ; 8-byte Folded Spill
	v_fma_f64 v[6:7], v[226:227], s[16:17], -v[4:5]
	v_add_f64_e64 v[4:5], v[178:179], -v[150:151]
	s_delay_alu instid0(VALU_DEP_2) | instskip(NEXT) | instid1(VALU_DEP_2)
	v_add_f64_e32 v[6:7], v[6:7], v[73:74]
	v_mul_f64_e32 v[73:74], s[28:29], v[4:5]
	scratch_store_b64 off, v[73:74], off offset:628 ; 8-byte Folded Spill
	v_fma_f64 v[73:74], v[218:219], s[14:15], v[73:74]
	s_delay_alu instid0(VALU_DEP_1) | instskip(SKIP_3) | instid1(VALU_DEP_1)
	v_add_f64_e32 v[71:72], v[73:74], v[71:72]
	v_mul_f64_e32 v[73:74], s[28:29], v[248:249]
	scratch_store_b64 off, v[73:74], off offset:692 ; 8-byte Folded Spill
	v_fma_f64 v[73:74], v[234:235], s[14:15], -v[73:74]
	v_add_f64_e32 v[6:7], v[73:74], v[6:7]
	v_mul_f64_e32 v[73:74], s[30:31], v[252:253]
	scratch_store_b64 off, v[73:74], off offset:644 ; 8-byte Folded Spill
	v_fma_f64 v[73:74], v[222:223], s[8:9], v[73:74]
	s_delay_alu instid0(VALU_DEP_1) | instskip(SKIP_3) | instid1(VALU_DEP_1)
	v_add_f64_e32 v[71:72], v[73:74], v[71:72]
	v_mul_f64_e32 v[73:74], s[30:31], v[254:255]
	scratch_store_b64 off, v[73:74], off offset:708 ; 8-byte Folded Spill
	v_fma_f64 v[73:74], v[238:239], s[8:9], -v[73:74]
	v_add_f64_e32 v[6:7], v[73:74], v[6:7]
	v_add_f64_e64 v[73:74], v[182:183], -v[174:175]
	s_delay_alu instid0(VALU_DEP_1) | instskip(SKIP_2) | instid1(VALU_DEP_1)
	v_mul_f64_e32 v[75:76], s[34:35], v[73:74]
	scratch_store_b64 off, v[75:76], off offset:676 ; 8-byte Folded Spill
	v_fma_f64 v[75:76], v[230:231], s[2:3], v[75:76]
	v_add_f64_e32 v[77:78], v[75:76], v[71:72]
	v_add_f64_e64 v[71:72], v[180:181], -v[172:173]
	s_delay_alu instid0(VALU_DEP_1) | instskip(SKIP_2) | instid1(VALU_DEP_1)
	v_mul_f64_e32 v[75:76], s[34:35], v[71:72]
	scratch_store_b64 off, v[75:76], off offset:724 ; 8-byte Folded Spill
	v_fma_f64 v[75:76], v[242:243], s[2:3], -v[75:76]
	v_add_f64_e32 v[79:80], v[75:76], v[6:7]
	v_mul_f64_e32 v[6:7], s[40:41], v[212:213]
	v_mul_f64_e32 v[75:76], s[38:39], v[216:217]
	scratch_store_b128 off, v[77:80], off offset:12 ; 16-byte Folded Spill
	v_mul_f64_e32 v[77:78], s[38:39], v[224:225]
	scratch_store_b64 off, v[75:76], off offset:772 ; 8-byte Folded Spill
	v_fma_f64 v[75:76], v[190:191], s[18:19], v[75:76]
	scratch_store_b64 off, v[77:78], off offset:864 ; 8-byte Folded Spill
	v_fma_f64 v[79:80], v[198:199], s[18:19], -v[77:78]
	v_mul_f64_e32 v[77:78], s[28:29], v[228:229]
	scratch_store_b64 off, v[6:7], off offset:936 ; 8-byte Folded Spill
	v_fma_f64 v[6:7], v[246:247], s[22:23], v[6:7]
	scratch_store_b64 off, v[77:78], off offset:792 ; 8-byte Folded Spill
	v_add_f64_e32 v[6:7], v[100:101], v[6:7]
	s_delay_alu instid0(VALU_DEP_1) | instskip(SKIP_3) | instid1(VALU_DEP_1)
	v_add_f64_e32 v[6:7], v[75:76], v[6:7]
	v_mul_f64_e32 v[75:76], s[40:41], v[220:221]
	scratch_store_b64 off, v[75:76], off offset:944 ; 8-byte Folded Spill
	v_fma_f64 v[75:76], v[250:251], s[22:23], -v[75:76]
	v_add_f64_e32 v[75:76], v[102:103], v[75:76]
	s_delay_alu instid0(VALU_DEP_1) | instskip(SKIP_2) | instid1(VALU_DEP_2)
	v_add_f64_e32 v[75:76], v[79:80], v[75:76]
	v_fma_f64 v[79:80], v[194:195], s[14:15], v[77:78]
	v_mul_f64_e32 v[77:78], s[28:29], v[232:233]
	v_add_f64_e32 v[6:7], v[79:80], v[6:7]
	scratch_store_b64 off, v[77:78], off offset:888 ; 8-byte Folded Spill
	v_fma_f64 v[79:80], v[206:207], s[14:15], -v[77:78]
	v_mul_f64_e32 v[77:78], s[34:35], v[236:237]
	s_delay_alu instid0(VALU_DEP_2) | instskip(SKIP_3) | instid1(VALU_DEP_2)
	v_add_f64_e32 v[75:76], v[79:80], v[75:76]
	scratch_store_b64 off, v[77:78], off offset:848 ; 8-byte Folded Spill
	v_fma_f64 v[79:80], v[202:203], s[2:3], v[77:78]
	v_mul_f64_e32 v[77:78], s[34:35], v[240:241]
	v_add_f64_e32 v[6:7], v[79:80], v[6:7]
	scratch_store_b64 off, v[77:78], off offset:896 ; 8-byte Folded Spill
	v_fma_f64 v[79:80], v[214:215], s[2:3], -v[77:78]
	v_mul_f64_e32 v[77:78], s[52:53], v[68:69]
	s_delay_alu instid0(VALU_DEP_2) | instskip(SKIP_3) | instid1(VALU_DEP_2)
	v_add_f64_e32 v[75:76], v[79:80], v[75:76]
	scratch_store_b64 off, v[77:78], off offset:872 ; 8-byte Folded Spill
	;; [unrolled: 9-line block ×3, first 2 shown]
	v_fma_f64 v[87:88], v[218:219], s[16:17], v[77:78]
	v_mul_f64_e32 v[77:78], s[50:51], v[248:249]
	v_add_f64_e32 v[6:7], v[87:88], v[6:7]
	s_delay_alu instid0(VALU_DEP_2) | instskip(NEXT) | instid1(VALU_DEP_1)
	v_fma_f64 v[87:88], v[234:235], s[16:17], -v[77:78]
	v_add_f64_e32 v[87:88], v[87:88], v[75:76]
	v_mul_f64_e32 v[75:76], s[44:45], v[252:253]
	scratch_store_b64 off, v[75:76], off offset:856 ; 8-byte Folded Spill
	v_fma_f64 v[91:92], v[222:223], s[20:21], v[75:76]
	v_mul_f64_e32 v[75:76], s[44:45], v[254:255]
	s_delay_alu instid0(VALU_DEP_2)
	v_add_f64_e32 v[6:7], v[91:92], v[6:7]
	scratch_store_b64 off, v[75:76], off offset:920 ; 8-byte Folded Spill
	v_fma_f64 v[104:105], v[238:239], s[20:21], -v[75:76]
	v_mul_f64_e32 v[75:76], s[46:47], v[73:74]
	scratch_store_b64 off, v[77:78], off offset:928 ; 8-byte Folded Spill
	v_add_f64_e32 v[104:105], v[104:105], v[87:88]
	scratch_store_b64 off, v[75:76], off offset:840 ; 8-byte Folded Spill
	v_fma_f64 v[87:88], v[230:231], s[24:25], v[75:76]
	s_delay_alu instid0(VALU_DEP_1) | instskip(SKIP_3) | instid1(VALU_DEP_1)
	v_add_f64_e32 v[75:76], v[87:88], v[6:7]
	v_mul_f64_e32 v[6:7], s[46:47], v[71:72]
	scratch_store_b64 off, v[6:7], off offset:904 ; 8-byte Folded Spill
	v_fma_f64 v[6:7], v[242:243], s[24:25], -v[6:7]
	v_add_f64_e32 v[77:78], v[6:7], v[104:105]
	v_fma_f64 v[6:7], v[246:247], s[20:21], v[200:201]
	scratch_store_b128 off, v[75:78], off offset:28 ; 16-byte Folded Spill
	v_mul_f64_e32 v[75:76], s[28:29], v[216:217]
	v_add_f64_e32 v[6:7], v[100:101], v[6:7]
	v_mul_f64_e32 v[77:78], s[30:31], v[73:74]
	scratch_store_b64 off, v[75:76], off offset:952 ; 8-byte Folded Spill
	v_fma_f64 v[106:107], v[190:191], s[14:15], v[75:76]
	scratch_store_b64 off, v[77:78], off offset:968 ; 8-byte Folded Spill
	v_mul_f64_e32 v[75:76], s[28:29], v[224:225]
	v_add_f64_e32 v[6:7], v[106:107], v[6:7]
	v_fma_f64 v[106:107], v[250:251], s[20:21], -v[208:209]
	scratch_store_b64 off, v[75:76], off offset:992 ; 8-byte Folded Spill
	v_fma_f64 v[136:137], v[198:199], s[14:15], -v[75:76]
	v_mul_f64_e32 v[75:76], s[58:59], v[228:229]
	v_add_f64_e32 v[106:107], v[102:103], v[106:107]
	scratch_store_b64 off, v[75:76], off offset:960 ; 8-byte Folded Spill
	v_fma_f64 v[138:139], v[194:195], s[2:3], v[75:76]
	v_mul_f64_e32 v[75:76], s[50:51], v[236:237]
	v_add_f64_e32 v[136:137], v[136:137], v[106:107]
	s_delay_alu instid0(VALU_DEP_3) | instskip(SKIP_1) | instid1(VALU_DEP_4)
	v_add_f64_e32 v[6:7], v[138:139], v[6:7]
	v_fma_f64 v[138:139], v[206:207], s[2:3], -v[164:165]
	v_fma_f64 v[152:153], v[202:203], s[16:17], v[75:76]
	scratch_store_b64 off, v[75:76], off offset:976 ; 8-byte Folded Spill
	v_mul_f64_e32 v[75:76], s[36:37], v[4:5]
	v_add_f64_e32 v[136:137], v[138:139], v[136:137]
	v_add_f64_e32 v[6:7], v[152:153], v[6:7]
	v_fma_f64 v[152:153], v[214:215], s[16:17], -v[166:167]
	scratch_store_b64 off, v[75:76], off offset:1000 ; 8-byte Folded Spill
	v_add_f64_e32 v[136:137], v[152:153], v[136:137]
	v_fma_f64 v[152:153], v[210:211], s[22:23], v[154:155]
	s_delay_alu instid0(VALU_DEP_1) | instskip(SKIP_1) | instid1(VALU_DEP_1)
	v_add_f64_e32 v[6:7], v[152:153], v[6:7]
	v_fma_f64 v[152:153], v[226:227], s[22:23], -v[192:193]
	v_add_f64_e32 v[136:137], v[152:153], v[136:137]
	v_fma_f64 v[152:153], v[218:219], s[24:25], v[75:76]
	v_mul_f64_e32 v[75:76], s[38:39], v[252:253]
	s_delay_alu instid0(VALU_DEP_2) | instskip(SKIP_1) | instid1(VALU_DEP_3)
	v_add_f64_e32 v[6:7], v[152:153], v[6:7]
	v_fma_f64 v[152:153], v[234:235], s[24:25], -v[204:205]
	v_fma_f64 v[188:189], v[222:223], s[18:19], v[75:76]
	scratch_store_b64 off, v[75:76], off offset:984 ; 8-byte Folded Spill
	v_add_f64_e32 v[136:137], v[152:153], v[136:137]
	v_add_f64_e32 v[6:7], v[188:189], v[6:7]
	v_fma_f64 v[188:189], v[238:239], s[18:19], -v[196:197]
	s_delay_alu instid0(VALU_DEP_1) | instskip(SKIP_1) | instid1(VALU_DEP_1)
	v_add_f64_e32 v[75:76], v[188:189], v[136:137]
	v_fma_f64 v[188:189], v[230:231], s[8:9], v[77:78]
	v_add_f64_e32 v[77:78], v[188:189], v[6:7]
	v_mul_f64_e32 v[188:189], s[30:31], v[71:72]
	s_delay_alu instid0(VALU_DEP_1) | instskip(NEXT) | instid1(VALU_DEP_1)
	v_fma_f64 v[6:7], v[242:243], s[8:9], -v[188:189]
	v_add_f64_e32 v[79:80], v[6:7], v[75:76]
	v_mul_f64_e32 v[6:7], s[38:39], v[212:213]
	scratch_store_b128 off, v[77:80], off offset:44 ; 16-byte Folded Spill
	v_fma_f64 v[75:76], v[246:247], s[18:19], -v[6:7]
	v_mul_f64_e32 v[77:78], s[34:35], v[216:217]
	v_fma_f64 v[6:7], v[246:247], s[18:19], v[6:7]
	s_delay_alu instid0(VALU_DEP_3) | instskip(NEXT) | instid1(VALU_DEP_3)
	v_add_f64_e32 v[75:76], v[100:101], v[75:76]
	v_fma_f64 v[79:80], v[190:191], s[2:3], -v[77:78]
	s_delay_alu instid0(VALU_DEP_3) | instskip(SKIP_1) | instid1(VALU_DEP_3)
	v_add_f64_e32 v[6:7], v[100:101], v[6:7]
	v_fma_f64 v[77:78], v[190:191], s[2:3], v[77:78]
	v_add_f64_e32 v[75:76], v[79:80], v[75:76]
	v_mul_f64_e32 v[79:80], s[38:39], v[220:221]
	s_delay_alu instid0(VALU_DEP_3) | instskip(NEXT) | instid1(VALU_DEP_2)
	v_add_f64_e32 v[6:7], v[77:78], v[6:7]
	v_fma_f64 v[81:82], v[250:251], s[18:19], v[79:80]
	v_fma_f64 v[77:78], v[250:251], s[18:19], -v[79:80]
	v_fma_f64 v[79:80], v[198:199], s[2:3], -v[83:84]
	v_mul_f64_e32 v[83:84], s[52:53], v[224:225]
	s_delay_alu instid0(VALU_DEP_4) | instskip(NEXT) | instid1(VALU_DEP_4)
	v_add_f64_e32 v[81:82], v[102:103], v[81:82]
	v_add_f64_e32 v[77:78], v[102:103], v[77:78]
	s_delay_alu instid0(VALU_DEP_2) | instskip(SKIP_1) | instid1(VALU_DEP_3)
	v_add_f64_e32 v[81:82], v[85:86], v[81:82]
	v_mul_f64_e32 v[85:86], s[50:51], v[228:229]
	v_add_f64_e32 v[77:78], v[79:80], v[77:78]
	s_delay_alu instid0(VALU_DEP_2) | instskip(SKIP_2) | instid1(VALU_DEP_3)
	v_fma_f64 v[87:88], v[194:195], s[16:17], -v[85:86]
	v_fma_f64 v[79:80], v[194:195], s[16:17], v[85:86]
	v_fma_f64 v[85:86], v[198:199], s[8:9], v[83:84]
	v_add_f64_e32 v[75:76], v[87:88], v[75:76]
	v_mul_f64_e32 v[87:88], s[50:51], v[232:233]
	s_delay_alu instid0(VALU_DEP_4) | instskip(NEXT) | instid1(VALU_DEP_2)
	v_add_f64_e32 v[6:7], v[79:80], v[6:7]
	v_fma_f64 v[89:90], v[206:207], s[16:17], v[87:88]
	v_fma_f64 v[79:80], v[206:207], s[16:17], -v[87:88]
	s_delay_alu instid0(VALU_DEP_2) | instskip(SKIP_1) | instid1(VALU_DEP_3)
	v_add_f64_e32 v[81:82], v[89:90], v[81:82]
	v_mul_f64_e32 v[89:90], s[46:47], v[236:237]
	v_add_f64_e32 v[77:78], v[79:80], v[77:78]
	s_delay_alu instid0(VALU_DEP_2) | instskip(SKIP_1) | instid1(VALU_DEP_2)
	v_fma_f64 v[91:92], v[202:203], s[24:25], -v[89:90]
	v_fma_f64 v[79:80], v[202:203], s[24:25], v[89:90]
	v_add_f64_e32 v[75:76], v[91:92], v[75:76]
	v_mul_f64_e32 v[91:92], s[46:47], v[240:241]
	s_delay_alu instid0(VALU_DEP_3) | instskip(NEXT) | instid1(VALU_DEP_2)
	v_add_f64_e32 v[6:7], v[79:80], v[6:7]
	v_fma_f64 v[93:94], v[214:215], s[24:25], v[91:92]
	v_fma_f64 v[79:80], v[214:215], s[24:25], -v[91:92]
	s_delay_alu instid0(VALU_DEP_2) | instskip(SKIP_1) | instid1(VALU_DEP_3)
	v_add_f64_e32 v[81:82], v[93:94], v[81:82]
	v_mul_f64_e32 v[93:94], s[42:43], v[68:69]
	v_add_f64_e32 v[77:78], v[79:80], v[77:78]
	s_delay_alu instid0(VALU_DEP_2) | instskip(SKIP_1) | instid1(VALU_DEP_2)
	v_fma_f64 v[95:96], v[210:211], s[20:21], -v[93:94]
	v_fma_f64 v[79:80], v[210:211], s[20:21], v[93:94]
	v_add_f64_e32 v[75:76], v[95:96], v[75:76]
	v_mul_f64_e32 v[95:96], s[42:43], v[244:245]
	s_delay_alu instid0(VALU_DEP_3) | instskip(NEXT) | instid1(VALU_DEP_2)
	;; [unrolled: 13-line block ×4, first 2 shown]
	v_add_f64_e32 v[6:7], v[79:80], v[6:7]
	v_fma_f64 v[138:139], v[238:239], s[14:15], v[136:137]
	v_fma_f64 v[79:80], v[238:239], s[14:15], -v[136:137]
	s_delay_alu instid0(VALU_DEP_2) | instskip(SKIP_1) | instid1(VALU_DEP_3)
	v_add_f64_e32 v[81:82], v[138:139], v[81:82]
	v_mul_f64_e32 v[138:139], s[48:49], v[73:74]
	v_add_f64_e32 v[77:78], v[79:80], v[77:78]
	s_delay_alu instid0(VALU_DEP_2) | instskip(SKIP_1) | instid1(VALU_DEP_2)
	v_fma_f64 v[152:153], v[230:231], s[22:23], -v[138:139]
	v_fma_f64 v[79:80], v[230:231], s[22:23], v[138:139]
	v_add_f64_e32 v[160:161], v[152:153], v[75:76]
	v_mul_f64_e32 v[75:76], s[48:49], v[71:72]
	s_delay_alu instid0(VALU_DEP_3) | instskip(SKIP_1) | instid1(VALU_DEP_3)
	v_add_f64_e32 v[79:80], v[79:80], v[6:7]
	v_mul_f64_e32 v[6:7], s[26:27], v[212:213]
	v_fma_f64 v[152:153], v[242:243], s[22:23], v[75:76]
	v_fma_f64 v[75:76], v[242:243], s[22:23], -v[75:76]
	s_delay_alu instid0(VALU_DEP_2) | instskip(NEXT) | instid1(VALU_DEP_2)
	v_add_f64_e32 v[162:163], v[152:153], v[81:82]
	v_add_f64_e32 v[81:82], v[75:76], v[77:78]
	v_fma_f64 v[75:76], v[246:247], s[16:17], -v[6:7]
	v_mul_f64_e32 v[77:78], s[52:53], v[216:217]
	v_fma_f64 v[6:7], v[246:247], s[16:17], v[6:7]
	s_clause 0x1
	scratch_store_b128 off, v[160:163], off offset:60
	scratch_store_b128 off, v[79:82], off offset:76
	v_add_f64_e32 v[75:76], v[100:101], v[75:76]
	v_fma_f64 v[79:80], v[190:191], s[8:9], -v[77:78]
	v_add_f64_e32 v[6:7], v[100:101], v[6:7]
	v_fma_f64 v[77:78], v[190:191], s[8:9], v[77:78]
	s_delay_alu instid0(VALU_DEP_3) | instskip(SKIP_1) | instid1(VALU_DEP_3)
	v_add_f64_e32 v[75:76], v[79:80], v[75:76]
	v_mul_f64_e32 v[79:80], s[26:27], v[220:221]
	v_add_f64_e32 v[6:7], v[77:78], v[6:7]
	s_delay_alu instid0(VALU_DEP_2) | instskip(SKIP_3) | instid1(VALU_DEP_4)
	v_fma_f64 v[81:82], v[250:251], s[16:17], v[79:80]
	v_fma_f64 v[77:78], v[250:251], s[16:17], -v[79:80]
	v_fma_f64 v[79:80], v[198:199], s[8:9], -v[83:84]
	v_mul_f64_e32 v[83:84], s[50:51], v[224:225]
	v_add_f64_e32 v[81:82], v[102:103], v[81:82]
	s_delay_alu instid0(VALU_DEP_4) | instskip(NEXT) | instid1(VALU_DEP_2)
	v_add_f64_e32 v[77:78], v[102:103], v[77:78]
	v_add_f64_e32 v[81:82], v[85:86], v[81:82]
	v_mul_f64_e32 v[85:86], s[48:49], v[228:229]
	s_delay_alu instid0(VALU_DEP_3) | instskip(NEXT) | instid1(VALU_DEP_2)
	v_add_f64_e32 v[77:78], v[79:80], v[77:78]
	v_fma_f64 v[87:88], v[194:195], s[22:23], -v[85:86]
	v_fma_f64 v[79:80], v[194:195], s[22:23], v[85:86]
	v_fma_f64 v[85:86], v[198:199], s[16:17], v[83:84]
	s_delay_alu instid0(VALU_DEP_3) | instskip(SKIP_1) | instid1(VALU_DEP_4)
	v_add_f64_e32 v[75:76], v[87:88], v[75:76]
	v_mul_f64_e32 v[87:88], s[48:49], v[232:233]
	v_add_f64_e32 v[6:7], v[79:80], v[6:7]
	s_delay_alu instid0(VALU_DEP_2) | instskip(SKIP_1) | instid1(VALU_DEP_2)
	v_fma_f64 v[89:90], v[206:207], s[22:23], v[87:88]
	v_fma_f64 v[79:80], v[206:207], s[22:23], -v[87:88]
	v_add_f64_e32 v[81:82], v[89:90], v[81:82]
	v_mul_f64_e32 v[89:90], s[42:43], v[236:237]
	s_delay_alu instid0(VALU_DEP_3) | instskip(NEXT) | instid1(VALU_DEP_2)
	v_add_f64_e32 v[77:78], v[79:80], v[77:78]
	v_fma_f64 v[91:92], v[202:203], s[20:21], -v[89:90]
	v_fma_f64 v[79:80], v[202:203], s[20:21], v[89:90]
	s_delay_alu instid0(VALU_DEP_2) | instskip(SKIP_1) | instid1(VALU_DEP_3)
	v_add_f64_e32 v[75:76], v[91:92], v[75:76]
	v_mul_f64_e32 v[91:92], s[42:43], v[240:241]
	v_add_f64_e32 v[6:7], v[79:80], v[6:7]
	s_delay_alu instid0(VALU_DEP_2) | instskip(SKIP_1) | instid1(VALU_DEP_2)
	v_fma_f64 v[93:94], v[214:215], s[20:21], v[91:92]
	v_fma_f64 v[79:80], v[214:215], s[20:21], -v[91:92]
	v_add_f64_e32 v[81:82], v[93:94], v[81:82]
	v_mul_f64_e32 v[93:94], s[34:35], v[68:69]
	s_delay_alu instid0(VALU_DEP_3) | instskip(NEXT) | instid1(VALU_DEP_2)
	v_add_f64_e32 v[77:78], v[79:80], v[77:78]
	v_fma_f64 v[95:96], v[210:211], s[2:3], -v[93:94]
	v_fma_f64 v[79:80], v[210:211], s[2:3], v[93:94]
	s_delay_alu instid0(VALU_DEP_2) | instskip(SKIP_1) | instid1(VALU_DEP_3)
	;; [unrolled: 13-line block ×5, first 2 shown]
	v_add_f64_e32 v[160:161], v[152:153], v[75:76]
	v_mul_f64_e32 v[75:76], s[28:29], v[71:72]
	v_add_f64_e32 v[79:80], v[79:80], v[6:7]
	v_mul_f64_e32 v[6:7], s[28:29], v[212:213]
	s_delay_alu instid0(VALU_DEP_3) | instskip(SKIP_1) | instid1(VALU_DEP_2)
	v_fma_f64 v[152:153], v[242:243], s[14:15], v[75:76]
	v_fma_f64 v[75:76], v[242:243], s[14:15], -v[75:76]
	v_add_f64_e32 v[162:163], v[152:153], v[81:82]
	s_delay_alu instid0(VALU_DEP_2)
	v_add_f64_e32 v[81:82], v[75:76], v[77:78]
	v_fma_f64 v[75:76], v[246:247], s[14:15], -v[6:7]
	v_mul_f64_e32 v[77:78], s[50:51], v[216:217]
	v_fma_f64 v[6:7], v[246:247], s[14:15], v[6:7]
	s_clause 0x1
	scratch_store_b128 off, v[160:163], off offset:92
	scratch_store_b128 off, v[79:82], off offset:108
	v_add_f64_e32 v[75:76], v[100:101], v[75:76]
	v_fma_f64 v[79:80], v[190:191], s[16:17], -v[77:78]
	v_add_f64_e32 v[6:7], v[100:101], v[6:7]
	v_fma_f64 v[77:78], v[190:191], s[16:17], v[77:78]
	s_delay_alu instid0(VALU_DEP_3) | instskip(SKIP_1) | instid1(VALU_DEP_3)
	v_add_f64_e32 v[75:76], v[79:80], v[75:76]
	v_mul_f64_e32 v[79:80], s[28:29], v[220:221]
	v_add_f64_e32 v[6:7], v[77:78], v[6:7]
	s_delay_alu instid0(VALU_DEP_2) | instskip(SKIP_3) | instid1(VALU_DEP_4)
	v_fma_f64 v[81:82], v[250:251], s[14:15], v[79:80]
	v_fma_f64 v[77:78], v[250:251], s[14:15], -v[79:80]
	v_fma_f64 v[79:80], v[198:199], s[16:17], -v[83:84]
	v_mul_f64_e32 v[83:84], s[44:45], v[224:225]
	v_add_f64_e32 v[81:82], v[102:103], v[81:82]
	s_delay_alu instid0(VALU_DEP_4) | instskip(NEXT) | instid1(VALU_DEP_2)
	v_add_f64_e32 v[77:78], v[102:103], v[77:78]
	v_add_f64_e32 v[81:82], v[85:86], v[81:82]
	v_mul_f64_e32 v[85:86], s[36:37], v[228:229]
	s_delay_alu instid0(VALU_DEP_3) | instskip(NEXT) | instid1(VALU_DEP_2)
	v_add_f64_e32 v[77:78], v[79:80], v[77:78]
	v_fma_f64 v[87:88], v[194:195], s[24:25], -v[85:86]
	v_fma_f64 v[79:80], v[194:195], s[24:25], v[85:86]
	v_fma_f64 v[85:86], v[198:199], s[20:21], v[83:84]
	s_delay_alu instid0(VALU_DEP_3) | instskip(SKIP_1) | instid1(VALU_DEP_4)
	v_add_f64_e32 v[75:76], v[87:88], v[75:76]
	v_mul_f64_e32 v[87:88], s[36:37], v[232:233]
	v_add_f64_e32 v[6:7], v[79:80], v[6:7]
	s_delay_alu instid0(VALU_DEP_2) | instskip(SKIP_1) | instid1(VALU_DEP_2)
	v_fma_f64 v[89:90], v[206:207], s[24:25], v[87:88]
	v_fma_f64 v[79:80], v[206:207], s[24:25], -v[87:88]
	v_add_f64_e32 v[81:82], v[89:90], v[81:82]
	v_mul_f64_e32 v[89:90], s[30:31], v[236:237]
	s_delay_alu instid0(VALU_DEP_3) | instskip(NEXT) | instid1(VALU_DEP_2)
	v_add_f64_e32 v[77:78], v[79:80], v[77:78]
	v_fma_f64 v[91:92], v[202:203], s[8:9], -v[89:90]
	v_fma_f64 v[79:80], v[202:203], s[8:9], v[89:90]
	s_delay_alu instid0(VALU_DEP_2) | instskip(SKIP_1) | instid1(VALU_DEP_3)
	v_add_f64_e32 v[75:76], v[91:92], v[75:76]
	v_mul_f64_e32 v[91:92], s[30:31], v[240:241]
	v_add_f64_e32 v[6:7], v[79:80], v[6:7]
	s_delay_alu instid0(VALU_DEP_2) | instskip(SKIP_1) | instid1(VALU_DEP_2)
	v_fma_f64 v[93:94], v[214:215], s[8:9], v[91:92]
	v_fma_f64 v[79:80], v[214:215], s[8:9], -v[91:92]
	v_add_f64_e32 v[81:82], v[93:94], v[81:82]
	v_mul_f64_e32 v[93:94], s[54:55], v[68:69]
	s_delay_alu instid0(VALU_DEP_3) | instskip(NEXT) | instid1(VALU_DEP_2)
	v_add_f64_e32 v[77:78], v[79:80], v[77:78]
	v_fma_f64 v[95:96], v[210:211], s[18:19], -v[93:94]
	v_fma_f64 v[79:80], v[210:211], s[18:19], v[93:94]
	s_delay_alu instid0(VALU_DEP_2) | instskip(SKIP_1) | instid1(VALU_DEP_3)
	;; [unrolled: 13-line block ×5, first 2 shown]
	v_add_f64_e32 v[160:161], v[152:153], v[75:76]
	v_mul_f64_e32 v[75:76], s[44:45], v[71:72]
	v_add_f64_e32 v[79:80], v[79:80], v[6:7]
	v_mul_f64_e32 v[6:7], s[30:31], v[212:213]
	s_delay_alu instid0(VALU_DEP_3) | instskip(SKIP_1) | instid1(VALU_DEP_2)
	v_fma_f64 v[152:153], v[242:243], s[20:21], v[75:76]
	v_fma_f64 v[75:76], v[242:243], s[20:21], -v[75:76]
	v_add_f64_e32 v[162:163], v[152:153], v[81:82]
	s_delay_alu instid0(VALU_DEP_2)
	v_add_f64_e32 v[81:82], v[75:76], v[77:78]
	v_fma_f64 v[75:76], v[246:247], s[8:9], -v[6:7]
	v_mul_f64_e32 v[77:78], s[44:45], v[216:217]
	v_fma_f64 v[6:7], v[246:247], s[8:9], v[6:7]
	s_clause 0x1
	scratch_store_b128 off, v[160:163], off offset:124
	scratch_store_b128 off, v[79:82], off offset:140
	v_add_f64_e32 v[75:76], v[100:101], v[75:76]
	v_fma_f64 v[79:80], v[190:191], s[20:21], -v[77:78]
	v_add_f64_e32 v[6:7], v[100:101], v[6:7]
	v_fma_f64 v[77:78], v[190:191], s[20:21], v[77:78]
	s_delay_alu instid0(VALU_DEP_3) | instskip(SKIP_1) | instid1(VALU_DEP_3)
	v_add_f64_e32 v[75:76], v[79:80], v[75:76]
	v_mul_f64_e32 v[79:80], s[30:31], v[220:221]
	v_add_f64_e32 v[6:7], v[77:78], v[6:7]
	s_delay_alu instid0(VALU_DEP_2) | instskip(SKIP_2) | instid1(VALU_DEP_3)
	v_fma_f64 v[81:82], v[250:251], s[8:9], v[79:80]
	v_fma_f64 v[77:78], v[250:251], s[8:9], -v[79:80]
	v_fma_f64 v[79:80], v[198:199], s[20:21], -v[83:84]
	v_add_f64_e32 v[81:82], v[102:103], v[81:82]
	s_delay_alu instid0(VALU_DEP_3) | instskip(NEXT) | instid1(VALU_DEP_2)
	v_add_f64_e32 v[77:78], v[102:103], v[77:78]
	v_add_f64_e32 v[81:82], v[85:86], v[81:82]
	v_mul_f64_e32 v[85:86], s[38:39], v[228:229]
	s_delay_alu instid0(VALU_DEP_3) | instskip(NEXT) | instid1(VALU_DEP_2)
	v_add_f64_e32 v[77:78], v[79:80], v[77:78]
	v_fma_f64 v[87:88], v[194:195], s[18:19], -v[85:86]
	v_fma_f64 v[79:80], v[194:195], s[18:19], v[85:86]
	s_delay_alu instid0(VALU_DEP_2) | instskip(SKIP_1) | instid1(VALU_DEP_3)
	v_add_f64_e32 v[75:76], v[87:88], v[75:76]
	v_mul_f64_e32 v[87:88], s[38:39], v[232:233]
	v_add_f64_e32 v[6:7], v[79:80], v[6:7]
	s_delay_alu instid0(VALU_DEP_2) | instskip(SKIP_1) | instid1(VALU_DEP_2)
	v_fma_f64 v[89:90], v[206:207], s[18:19], v[87:88]
	v_fma_f64 v[79:80], v[206:207], s[18:19], -v[87:88]
	v_add_f64_e32 v[81:82], v[89:90], v[81:82]
	v_mul_f64_e32 v[89:90], s[56:57], v[236:237]
	s_delay_alu instid0(VALU_DEP_3) | instskip(NEXT) | instid1(VALU_DEP_2)
	v_add_f64_e32 v[77:78], v[79:80], v[77:78]
	v_fma_f64 v[91:92], v[202:203], s[14:15], -v[89:90]
	v_fma_f64 v[79:80], v[202:203], s[14:15], v[89:90]
	s_delay_alu instid0(VALU_DEP_2) | instskip(SKIP_1) | instid1(VALU_DEP_3)
	v_add_f64_e32 v[75:76], v[91:92], v[75:76]
	v_mul_f64_e32 v[91:92], s[56:57], v[240:241]
	v_add_f64_e32 v[6:7], v[79:80], v[6:7]
	s_delay_alu instid0(VALU_DEP_2) | instskip(SKIP_1) | instid1(VALU_DEP_2)
	v_fma_f64 v[93:94], v[214:215], s[14:15], v[91:92]
	v_fma_f64 v[79:80], v[214:215], s[14:15], -v[91:92]
	v_add_f64_e32 v[81:82], v[93:94], v[81:82]
	v_mul_f64_e32 v[93:94], s[36:37], v[68:69]
	s_delay_alu instid0(VALU_DEP_3) | instskip(SKIP_1) | instid1(VALU_DEP_3)
	v_add_f64_e32 v[77:78], v[79:80], v[77:78]
	v_mul_f64_e32 v[68:69], s[28:29], v[68:69]
	v_fma_f64 v[95:96], v[210:211], s[24:25], -v[93:94]
	v_fma_f64 v[79:80], v[210:211], s[24:25], v[93:94]
	s_delay_alu instid0(VALU_DEP_2) | instskip(SKIP_1) | instid1(VALU_DEP_3)
	v_add_f64_e32 v[75:76], v[95:96], v[75:76]
	v_mul_f64_e32 v[95:96], s[36:37], v[244:245]
	v_add_f64_e32 v[6:7], v[79:80], v[6:7]
	s_delay_alu instid0(VALU_DEP_2) | instskip(SKIP_1) | instid1(VALU_DEP_2)
	v_fma_f64 v[97:98], v[226:227], s[24:25], v[95:96]
	v_fma_f64 v[79:80], v[226:227], s[24:25], -v[95:96]
	v_add_f64_e32 v[81:82], v[97:98], v[81:82]
	v_mul_f64_e32 v[97:98], s[34:35], v[4:5]
	s_delay_alu instid0(VALU_DEP_3) | instskip(SKIP_1) | instid1(VALU_DEP_3)
	v_add_f64_e32 v[77:78], v[79:80], v[77:78]
	v_mul_f64_e32 v[4:5], s[44:45], v[4:5]
	v_fma_f64 v[104:105], v[218:219], s[2:3], -v[97:98]
	v_fma_f64 v[79:80], v[218:219], s[2:3], v[97:98]
	s_delay_alu instid0(VALU_DEP_2) | instskip(SKIP_1) | instid1(VALU_DEP_3)
	v_add_f64_e32 v[75:76], v[104:105], v[75:76]
	v_mul_f64_e32 v[104:105], s[34:35], v[248:249]
	v_add_f64_e32 v[6:7], v[79:80], v[6:7]
	s_delay_alu instid0(VALU_DEP_2) | instskip(SKIP_1) | instid1(VALU_DEP_2)
	v_fma_f64 v[106:107], v[234:235], s[2:3], v[104:105]
	v_fma_f64 v[79:80], v[234:235], s[2:3], -v[104:105]
	v_add_f64_e32 v[81:82], v[106:107], v[81:82]
	v_mul_f64_e32 v[106:107], s[48:49], v[252:253]
	s_delay_alu instid0(VALU_DEP_3) | instskip(NEXT) | instid1(VALU_DEP_2)
	v_add_f64_e32 v[77:78], v[79:80], v[77:78]
	v_fma_f64 v[136:137], v[222:223], s[22:23], -v[106:107]
	v_fma_f64 v[79:80], v[222:223], s[22:23], v[106:107]
	s_delay_alu instid0(VALU_DEP_2) | instskip(SKIP_1) | instid1(VALU_DEP_3)
	v_add_f64_e32 v[75:76], v[136:137], v[75:76]
	v_mul_f64_e32 v[136:137], s[48:49], v[254:255]
	v_add_f64_e32 v[6:7], v[79:80], v[6:7]
	s_delay_alu instid0(VALU_DEP_2) | instskip(SKIP_1) | instid1(VALU_DEP_2)
	v_fma_f64 v[138:139], v[238:239], s[22:23], v[136:137]
	v_fma_f64 v[79:80], v[238:239], s[22:23], -v[136:137]
	v_add_f64_e32 v[81:82], v[138:139], v[81:82]
	v_mul_f64_e32 v[138:139], s[26:27], v[73:74]
	s_delay_alu instid0(VALU_DEP_3) | instskip(SKIP_1) | instid1(VALU_DEP_3)
	v_add_f64_e32 v[77:78], v[79:80], v[77:78]
	v_mul_f64_e32 v[73:74], s[54:55], v[73:74]
	v_fma_f64 v[152:153], v[230:231], s[16:17], -v[138:139]
	v_fma_f64 v[79:80], v[230:231], s[16:17], v[138:139]
	s_delay_alu instid0(VALU_DEP_2) | instskip(SKIP_1) | instid1(VALU_DEP_3)
	v_add_f64_e32 v[160:161], v[152:153], v[75:76]
	v_mul_f64_e32 v[75:76], s[26:27], v[71:72]
	v_add_f64_e32 v[79:80], v[79:80], v[6:7]
	v_mul_f64_e32 v[6:7], s[34:35], v[212:213]
	v_mul_f64_e32 v[71:72], s[54:55], v[71:72]
	s_delay_alu instid0(VALU_DEP_4) | instskip(SKIP_1) | instid1(VALU_DEP_2)
	v_fma_f64 v[152:153], v[242:243], s[16:17], v[75:76]
	v_fma_f64 v[75:76], v[242:243], s[16:17], -v[75:76]
	v_add_f64_e32 v[162:163], v[152:153], v[81:82]
	s_delay_alu instid0(VALU_DEP_2)
	v_add_f64_e32 v[81:82], v[75:76], v[77:78]
	v_mul_f64_e32 v[75:76], s[46:47], v[216:217]
	v_fma_f64 v[77:78], v[246:247], s[2:3], -v[6:7]
	v_fma_f64 v[6:7], v[246:247], s[2:3], v[6:7]
	scratch_load_b32 v216, off, off offset:8 ; 4-byte Folded Reload
	s_clause 0x1
	scratch_store_b128 off, v[160:163], off offset:156
	scratch_store_b128 off, v[79:82], off offset:172
	v_fma_f64 v[79:80], v[190:191], s[24:25], -v[75:76]
	v_add_f64_e32 v[77:78], v[100:101], v[77:78]
	v_mul_f64_e32 v[81:82], s[46:47], v[224:225]
	v_add_f64_e32 v[6:7], v[100:101], v[6:7]
	v_fma_f64 v[75:76], v[190:191], s[24:25], v[75:76]
	scratch_load_b32 v160, off, off offset:808 ; 4-byte Folded Reload
	v_add_f64_e32 v[77:78], v[79:80], v[77:78]
	v_mul_f64_e32 v[79:80], s[34:35], v[220:221]
	v_fma_f64 v[85:86], v[198:199], s[24:25], v[81:82]
	v_add_f64_e32 v[6:7], v[75:76], v[6:7]
	s_delay_alu instid0(VALU_DEP_3) | instskip(SKIP_1) | instid1(VALU_DEP_2)
	v_fma_f64 v[83:84], v[250:251], s[2:3], v[79:80]
	v_fma_f64 v[75:76], v[250:251], s[2:3], -v[79:80]
	v_add_f64_e32 v[83:84], v[102:103], v[83:84]
	s_delay_alu instid0(VALU_DEP_2) | instskip(NEXT) | instid1(VALU_DEP_2)
	v_add_f64_e32 v[75:76], v[102:103], v[75:76]
	v_add_f64_e32 v[83:84], v[85:86], v[83:84]
	v_mul_f64_e32 v[85:86], s[30:31], v[228:229]
	s_delay_alu instid0(VALU_DEP_1) | instskip(NEXT) | instid1(VALU_DEP_1)
	v_fma_f64 v[87:88], v[194:195], s[8:9], -v[85:86]
	v_add_f64_e32 v[77:78], v[87:88], v[77:78]
	v_mul_f64_e32 v[87:88], s[30:31], v[232:233]
	s_delay_alu instid0(VALU_DEP_1) | instskip(NEXT) | instid1(VALU_DEP_1)
	v_fma_f64 v[89:90], v[206:207], s[8:9], v[87:88]
	v_add_f64_e32 v[83:84], v[89:90], v[83:84]
	v_mul_f64_e32 v[89:90], s[48:49], v[236:237]
	s_wait_loadcnt 0x0
	v_lshlrev_b32_e32 v217, 4, v160
	s_delay_alu instid0(VALU_DEP_2) | instskip(NEXT) | instid1(VALU_DEP_1)
	v_fma_f64 v[91:92], v[202:203], s[22:23], -v[89:90]
	v_add_f64_e32 v[77:78], v[91:92], v[77:78]
	v_mul_f64_e32 v[91:92], s[48:49], v[240:241]
	s_delay_alu instid0(VALU_DEP_1) | instskip(NEXT) | instid1(VALU_DEP_1)
	v_fma_f64 v[93:94], v[214:215], s[22:23], v[91:92]
	v_add_f64_e32 v[83:84], v[93:94], v[83:84]
	v_fma_f64 v[93:94], v[210:211], s[14:15], -v[68:69]
	v_fma_f64 v[68:69], v[210:211], s[14:15], v[68:69]
	s_delay_alu instid0(VALU_DEP_2) | instskip(SKIP_1) | instid1(VALU_DEP_1)
	v_add_f64_e32 v[77:78], v[93:94], v[77:78]
	v_mul_f64_e32 v[93:94], s[28:29], v[244:245]
	v_fma_f64 v[95:96], v[226:227], s[14:15], v[93:94]
	s_delay_alu instid0(VALU_DEP_1) | instskip(SKIP_2) | instid1(VALU_DEP_2)
	v_add_f64_e32 v[83:84], v[95:96], v[83:84]
	v_fma_f64 v[95:96], v[218:219], s[20:21], -v[4:5]
	v_fma_f64 v[4:5], v[218:219], s[20:21], v[4:5]
	v_add_f64_e32 v[77:78], v[95:96], v[77:78]
	v_mul_f64_e32 v[95:96], s[44:45], v[248:249]
	s_delay_alu instid0(VALU_DEP_1) | instskip(NEXT) | instid1(VALU_DEP_1)
	v_fma_f64 v[97:98], v[234:235], s[20:21], v[95:96]
	v_add_f64_e32 v[83:84], v[97:98], v[83:84]
	v_mul_f64_e32 v[97:98], s[26:27], v[252:253]
	s_delay_alu instid0(VALU_DEP_1) | instskip(NEXT) | instid1(VALU_DEP_1)
	v_fma_f64 v[104:105], v[222:223], s[16:17], -v[97:98]
	v_add_f64_e32 v[77:78], v[104:105], v[77:78]
	v_mul_f64_e32 v[104:105], s[26:27], v[254:255]
	s_delay_alu instid0(VALU_DEP_1) | instskip(NEXT) | instid1(VALU_DEP_1)
	v_fma_f64 v[106:107], v[238:239], s[16:17], v[104:105]
	v_add_f64_e32 v[83:84], v[106:107], v[83:84]
	v_fma_f64 v[106:107], v[230:231], s[18:19], -v[73:74]
	s_delay_alu instid0(VALU_DEP_1) | instskip(SKIP_2) | instid1(VALU_DEP_2)
	v_add_f64_e32 v[136:137], v[106:107], v[77:78]
	v_fma_f64 v[77:78], v[242:243], s[18:19], v[71:72]
	v_fma_f64 v[71:72], v[242:243], s[18:19], -v[71:72]
	v_add_f64_e32 v[138:139], v[77:78], v[83:84]
	v_fma_f64 v[77:78], v[198:199], s[24:25], -v[81:82]
	s_delay_alu instid0(VALU_DEP_1) | instskip(SKIP_1) | instid1(VALU_DEP_1)
	v_add_f64_e32 v[75:76], v[77:78], v[75:76]
	v_fma_f64 v[77:78], v[194:195], s[8:9], v[85:86]
	v_add_f64_e32 v[6:7], v[77:78], v[6:7]
	v_fma_f64 v[77:78], v[206:207], s[8:9], -v[87:88]
	s_delay_alu instid0(VALU_DEP_1) | instskip(SKIP_1) | instid1(VALU_DEP_1)
	v_add_f64_e32 v[75:76], v[77:78], v[75:76]
	v_fma_f64 v[77:78], v[202:203], s[22:23], v[89:90]
	v_add_f64_e32 v[6:7], v[77:78], v[6:7]
	v_fma_f64 v[77:78], v[214:215], s[22:23], -v[91:92]
	s_delay_alu instid0(VALU_DEP_2) | instskip(NEXT) | instid1(VALU_DEP_2)
	v_add_f64_e32 v[6:7], v[68:69], v[6:7]
	v_add_f64_e32 v[75:76], v[77:78], v[75:76]
	v_fma_f64 v[68:69], v[226:227], s[14:15], -v[93:94]
	s_delay_alu instid0(VALU_DEP_3) | instskip(SKIP_1) | instid1(VALU_DEP_3)
	v_add_f64_e32 v[4:5], v[4:5], v[6:7]
	v_fma_f64 v[6:7], v[234:235], s[20:21], -v[95:96]
	v_add_f64_e32 v[68:69], v[68:69], v[75:76]
	s_delay_alu instid0(VALU_DEP_1) | instskip(SKIP_1) | instid1(VALU_DEP_1)
	v_add_f64_e32 v[6:7], v[6:7], v[68:69]
	v_fma_f64 v[68:69], v[222:223], s[16:17], v[97:98]
	v_add_f64_e32 v[4:5], v[68:69], v[4:5]
	v_fma_f64 v[68:69], v[238:239], s[16:17], -v[104:105]
	s_delay_alu instid0(VALU_DEP_1) | instskip(SKIP_1) | instid1(VALU_DEP_2)
	v_add_f64_e32 v[6:7], v[68:69], v[6:7]
	v_fma_f64 v[68:69], v[230:231], s[18:19], v[73:74]
	v_add_f64_e32 v[6:7], v[71:72], v[6:7]
	s_delay_alu instid0(VALU_DEP_2)
	v_add_f64_e32 v[4:5], v[68:69], v[4:5]
	s_clause 0x1
	scratch_store_b128 off, v[136:139], off offset:188
	scratch_store_b128 off, v[4:7], off offset:204
	v_mul_lo_u16 v4, v216, 17
	global_wb scope:SCOPE_SE
	s_wait_storecnt 0x0
	s_wait_kmcnt 0x0
	s_barrier_signal -1
	s_barrier_wait -1
	global_inv scope:SCOPE_SE
	v_and_b32_e32 v4, 0xffff, v4
	s_delay_alu instid0(VALU_DEP_1)
	v_lshl_add_u32 v212, v4, 4, v217
	scratch_load_b128 v[4:7], off, off offset:500 th:TH_LOAD_LU ; 16-byte Folded Reload
	s_wait_loadcnt 0x0
	ds_store_b128 v212, v[4:7]
	ds_store_b128 v212, v[8:11] offset:16
	ds_store_b128 v212, v[16:19] offset:32
	;; [unrolled: 1-line block ×16, first 2 shown]
	v_add_co_u32 v0, null, v216, 17
	s_delay_alu instid0(VALU_DEP_1)
	v_mul_u32_u24_e32 v0, 17, v0
	scratch_store_b32 off, v0, off offset:788 ; 4-byte Folded Spill
	s_and_saveexec_b32 s26, vcc_lo
	s_cbranch_execz .LBB0_7
; %bb.6:
	v_add_f64_e32 v[0:1], v[102:103], v[110:111]
	v_add_f64_e32 v[2:3], v[100:101], v[108:109]
	s_clause 0x8
	scratch_load_b64 v[10:11], off, off offset:944 th:TH_LOAD_LU
	scratch_load_b64 v[20:21], off, off offset:952 th:TH_LOAD_LU
	;; [unrolled: 1-line block ×9, first 2 shown]
	v_mul_f64_e32 v[8:9], s[22:23], v[250:251]
	v_mul_f64_e32 v[6:7], s[20:21], v[246:247]
	;; [unrolled: 1-line block ×6, first 2 shown]
	v_add_f64_e32 v[0:1], v[0:1], v[114:115]
	v_add_f64_e32 v[2:3], v[2:3], v[112:113]
	v_add_f64_e64 v[6:7], v[6:7], -v[200:201]
	v_add_f64_e64 v[30:31], v[30:31], -v[154:155]
	v_add_f64_e32 v[32:33], v[204:205], v[32:33]
	v_add_f64_e32 v[0:1], v[0:1], v[126:127]
	;; [unrolled: 1-line block ×4, first 2 shown]
	s_delay_alu instid0(VALU_DEP_3) | instskip(NEXT) | instid1(VALU_DEP_3)
	v_add_f64_e32 v[0:1], v[0:1], v[146:147]
	v_add_f64_e32 v[2:3], v[2:3], v[144:145]
	s_delay_alu instid0(VALU_DEP_2) | instskip(NEXT) | instid1(VALU_DEP_2)
	v_add_f64_e32 v[0:1], v[0:1], v[158:159]
	v_add_f64_e32 v[2:3], v[2:3], v[156:157]
	s_delay_alu instid0(VALU_DEP_2) | instskip(NEXT) | instid1(VALU_DEP_2)
	;; [unrolled: 3-line block ×5, first 2 shown]
	v_add_f64_e32 v[0:1], v[0:1], v[174:175]
	v_add_f64_e32 v[2:3], v[2:3], v[172:173]
	s_wait_loadcnt 0x8
	v_add_f64_e32 v[8:9], v[10:11], v[8:9]
	v_mul_f64_e32 v[10:11], s[22:23], v[246:247]
	s_wait_loadcnt 0x6
	v_add_f64_e64 v[22:23], v[22:23], -v[24:25]
	v_mul_f64_e32 v[24:25], s[16:17], v[214:215]
	s_wait_loadcnt 0x5
	v_add_f64_e64 v[26:27], v[26:27], -v[28:29]
	v_mul_f64_e32 v[28:29], s[22:23], v[226:227]
	v_add_f64_e32 v[0:1], v[0:1], v[170:171]
	v_add_f64_e32 v[2:3], v[2:3], v[168:169]
	v_add_f64_e32 v[8:9], v[102:103], v[8:9]
	s_wait_loadcnt 0x4
	v_add_f64_e64 v[10:11], v[10:11], -v[12:13]
	v_mul_f64_e32 v[12:13], s[24:25], v[250:251]
	v_add_f64_e32 v[24:25], v[166:167], v[24:25]
	v_add_f64_e32 v[28:29], v[192:193], v[28:29]
	;; [unrolled: 1-line block ×5, first 2 shown]
	s_wait_loadcnt 0x2
	v_add_f64_e32 v[12:13], v[14:15], v[12:13]
	v_mul_f64_e32 v[14:15], s[24:25], v[246:247]
	v_add_f64_e32 v[0:1], v[0:1], v[142:143]
	v_add_f64_e32 v[2:3], v[2:3], v[140:141]
	s_delay_alu instid0(VALU_DEP_4) | instskip(SKIP_1) | instid1(VALU_DEP_4)
	v_add_f64_e32 v[12:13], v[102:103], v[12:13]
	s_wait_loadcnt 0x1
	v_add_f64_e64 v[14:15], v[14:15], -v[16:17]
	v_mul_f64_e32 v[16:17], s[14:15], v[198:199]
	v_add_f64_e32 v[0:1], v[0:1], v[134:135]
	v_add_f64_e32 v[2:3], v[2:3], v[132:133]
	s_delay_alu instid0(VALU_DEP_4) | instskip(SKIP_1) | instid1(VALU_DEP_4)
	v_add_f64_e32 v[14:15], v[100:101], v[14:15]
	s_wait_loadcnt 0x0
	v_add_f64_e32 v[16:17], v[18:19], v[16:17]
	v_mul_f64_e32 v[18:19], s[14:15], v[190:191]
	v_add_f64_e32 v[0:1], v[0:1], v[122:123]
	v_add_f64_e32 v[2:3], v[2:3], v[120:121]
	s_delay_alu instid0(VALU_DEP_3) | instskip(SKIP_1) | instid1(VALU_DEP_4)
	v_add_f64_e64 v[18:19], v[18:19], -v[20:21]
	v_mul_f64_e32 v[20:21], s[2:3], v[206:207]
	v_add_f64_e32 v[0:1], v[0:1], v[118:119]
	s_delay_alu instid0(VALU_DEP_4) | instskip(NEXT) | instid1(VALU_DEP_4)
	v_add_f64_e32 v[4:5], v[2:3], v[116:117]
	v_add_f64_e32 v[6:7], v[18:19], v[6:7]
	s_delay_alu instid0(VALU_DEP_4)
	v_add_f64_e32 v[20:21], v[164:165], v[20:21]
	scratch_load_b64 v[18:19], off, off offset:1000 th:TH_LOAD_LU ; 8-byte Folded Reload
	v_add_f64_e32 v[2:3], v[0:1], v[130:131]
	v_add_f64_e32 v[0:1], v[4:5], v[128:129]
	v_mul_f64_e32 v[4:5], s[20:21], v[250:251]
	v_add_f64_e32 v[6:7], v[22:23], v[6:7]
	scratch_load_b64 v[22:23], off, off offset:984 th:TH_LOAD_LU ; 8-byte Folded Reload
	v_add_f64_e32 v[4:5], v[208:209], v[4:5]
	v_add_f64_e32 v[6:7], v[26:27], v[6:7]
	scratch_load_b64 v[26:27], off, off offset:896 th:TH_LOAD_LU ; 8-byte Folded Reload
	v_add_f64_e32 v[4:5], v[102:103], v[4:5]
	;; [unrolled: 3-line block ×3, first 2 shown]
	v_mul_f64_e32 v[16:17], s[24:25], v[218:219]
	s_delay_alu instid0(VALU_DEP_2) | instskip(SKIP_1) | instid1(VALU_DEP_2)
	v_add_f64_e32 v[4:5], v[20:21], v[4:5]
	v_mul_f64_e32 v[20:21], s[18:19], v[222:223]
	v_add_f64_e32 v[4:5], v[24:25], v[4:5]
	scratch_load_b64 v[24:25], off, off offset:968 th:TH_LOAD_LU ; 8-byte Folded Reload
	v_add_f64_e32 v[4:5], v[28:29], v[4:5]
	scratch_load_b64 v[28:29], off, off offset:848 th:TH_LOAD_LU ; 8-byte Folded Reload
	;; [unrolled: 2-line block ×3, first 2 shown]
	s_wait_loadcnt 0x6
	v_add_f64_e64 v[16:17], v[16:17], -v[18:19]
	v_mul_f64_e32 v[18:19], s[18:19], v[238:239]
	s_wait_loadcnt 0x5
	v_add_f64_e64 v[20:21], v[20:21], -v[22:23]
	v_mul_f64_e32 v[22:23], s[8:9], v[242:243]
	s_delay_alu instid0(VALU_DEP_3) | instskip(SKIP_2) | instid1(VALU_DEP_4)
	v_add_f64_e32 v[18:19], v[196:197], v[18:19]
	v_add_f64_e32 v[6:7], v[16:17], v[6:7]
	v_mul_f64_e32 v[16:17], s[8:9], v[230:231]
	v_add_f64_e32 v[22:23], v[188:189], v[22:23]
	s_delay_alu instid0(VALU_DEP_4) | instskip(NEXT) | instid1(VALU_DEP_4)
	v_add_f64_e32 v[4:5], v[18:19], v[4:5]
	v_add_f64_e32 v[18:19], v[20:21], v[6:7]
	scratch_load_b64 v[20:21], off, off offset:772 th:TH_LOAD_LU ; 8-byte Folded Reload
	v_add_f64_e32 v[6:7], v[22:23], v[4:5]
	scratch_load_b64 v[22:23], off, off offset:888 th:TH_LOAD_LU ; 8-byte Folded Reload
	s_wait_loadcnt 0x4
	v_add_f64_e64 v[16:17], v[16:17], -v[24:25]
	scratch_load_b64 v[24:25], off, off offset:792 th:TH_LOAD_LU ; 8-byte Folded Reload
	v_add_f64_e32 v[4:5], v[16:17], v[18:19]
	scratch_load_b64 v[18:19], off, off offset:864 th:TH_LOAD_LU ; 8-byte Folded Reload
	v_mul_f64_e32 v[16:17], s[18:19], v[198:199]
	s_wait_loadcnt 0x0
	s_delay_alu instid0(VALU_DEP_1) | instskip(SKIP_1) | instid1(VALU_DEP_2)
	v_add_f64_e32 v[16:17], v[18:19], v[16:17]
	v_mul_f64_e32 v[18:19], s[18:19], v[190:191]
	v_add_f64_e32 v[8:9], v[16:17], v[8:9]
	s_delay_alu instid0(VALU_DEP_2) | instskip(SKIP_2) | instid1(VALU_DEP_3)
	v_add_f64_e64 v[18:19], v[18:19], -v[20:21]
	v_mul_f64_e32 v[20:21], s[14:15], v[206:207]
	v_mul_f64_e32 v[16:17], s[16:17], v[218:219]
	v_add_f64_e32 v[10:11], v[18:19], v[10:11]
	s_delay_alu instid0(VALU_DEP_3) | instskip(SKIP_1) | instid1(VALU_DEP_2)
	v_add_f64_e32 v[20:21], v[22:23], v[20:21]
	v_mul_f64_e32 v[22:23], s[14:15], v[194:195]
	v_add_f64_e32 v[8:9], v[20:21], v[8:9]
	s_clause 0x1
	scratch_load_b64 v[20:21], off, off offset:920 th:TH_LOAD_LU
	scratch_load_b64 v[18:19], off, off offset:880 th:TH_LOAD_LU
	v_add_f64_e64 v[22:23], v[22:23], -v[24:25]
	v_mul_f64_e32 v[24:25], s[2:3], v[214:215]
	s_delay_alu instid0(VALU_DEP_2) | instskip(SKIP_3) | instid1(VALU_DEP_2)
	v_add_f64_e32 v[10:11], v[22:23], v[10:11]
	scratch_load_b64 v[22:23], off, off offset:856 th:TH_LOAD_LU ; 8-byte Folded Reload
	v_add_f64_e32 v[24:25], v[26:27], v[24:25]
	v_mul_f64_e32 v[26:27], s[2:3], v[202:203]
	v_add_f64_e32 v[8:9], v[24:25], v[8:9]
	scratch_load_b64 v[24:25], off, off offset:904 th:TH_LOAD_LU ; 8-byte Folded Reload
	v_add_f64_e64 v[26:27], v[26:27], -v[28:29]
	v_mul_f64_e32 v[28:29], s[8:9], v[226:227]
	s_delay_alu instid0(VALU_DEP_2) | instskip(NEXT) | instid1(VALU_DEP_2)
	v_add_f64_e32 v[10:11], v[26:27], v[10:11]
	v_add_f64_e32 v[28:29], v[30:31], v[28:29]
	v_mul_f64_e32 v[30:31], s[8:9], v[210:211]
	scratch_load_b64 v[26:27], off, off offset:612 th:TH_LOAD_LU ; 8-byte Folded Reload
	v_add_f64_e32 v[8:9], v[28:29], v[8:9]
	scratch_load_b64 v[28:29], off, off offset:564 th:TH_LOAD_LU ; 8-byte Folded Reload
	s_wait_loadcnt 0x4
	v_add_f64_e64 v[16:17], v[16:17], -v[18:19]
	v_mul_f64_e32 v[18:19], s[20:21], v[238:239]
	s_delay_alu instid0(VALU_DEP_1) | instskip(SKIP_2) | instid1(VALU_DEP_1)
	v_add_f64_e32 v[18:19], v[20:21], v[18:19]
	v_mul_f64_e32 v[20:21], s[20:21], v[222:223]
	s_wait_loadcnt 0x3
	v_add_f64_e64 v[20:21], v[20:21], -v[22:23]
	v_mul_f64_e32 v[22:23], s[24:25], v[242:243]
	s_wait_loadcnt 0x2
	s_delay_alu instid0(VALU_DEP_1) | instskip(SKIP_3) | instid1(VALU_DEP_2)
	v_add_f64_e32 v[22:23], v[24:25], v[22:23]
	scratch_load_b64 v[24:25], off, off offset:840 th:TH_LOAD_LU ; 8-byte Folded Reload
	v_add_f64_e64 v[30:31], v[30:31], -v[32:33]
	v_mul_f64_e32 v[32:33], s[16:17], v[234:235]
	v_add_f64_e32 v[10:11], v[30:31], v[10:11]
	s_delay_alu instid0(VALU_DEP_2)
	v_add_f64_e32 v[32:33], v[34:35], v[32:33]
	s_clause 0x1
	scratch_load_b64 v[30:31], off, off offset:660 th:TH_LOAD_LU
	scratch_load_b64 v[34:35], off, off offset:692 th:TH_LOAD_LU
	v_add_f64_e32 v[10:11], v[16:17], v[10:11]
	v_add_f64_e32 v[8:9], v[32:33], v[8:9]
	v_mul_f64_e32 v[16:17], s[24:25], v[230:231]
	s_delay_alu instid0(VALU_DEP_2) | instskip(NEXT) | instid1(VALU_DEP_4)
	v_add_f64_e32 v[8:9], v[18:19], v[8:9]
	v_add_f64_e32 v[18:19], v[20:21], v[10:11]
	scratch_load_b64 v[20:21], off, off offset:516 th:TH_LOAD_LU ; 8-byte Folded Reload
	v_add_f64_e32 v[10:11], v[22:23], v[8:9]
	scratch_load_b64 v[22:23], off, off offset:580 th:TH_LOAD_LU ; 8-byte Folded Reload
	s_wait_loadcnt 0x4
	v_add_f64_e64 v[16:17], v[16:17], -v[24:25]
	scratch_load_b64 v[24:25], off, off offset:532 th:TH_LOAD_LU ; 8-byte Folded Reload
	v_add_f64_e32 v[8:9], v[16:17], v[18:19]
	scratch_load_b64 v[18:19], off, off offset:548 th:TH_LOAD_LU ; 8-byte Folded Reload
	v_mul_f64_e32 v[16:17], s[22:23], v[198:199]
	s_wait_loadcnt 0x0
	s_delay_alu instid0(VALU_DEP_1) | instskip(SKIP_1) | instid1(VALU_DEP_2)
	v_add_f64_e32 v[16:17], v[18:19], v[16:17]
	v_mul_f64_e32 v[18:19], s[22:23], v[190:191]
	v_add_f64_e32 v[12:13], v[16:17], v[12:13]
	s_delay_alu instid0(VALU_DEP_2) | instskip(SKIP_2) | instid1(VALU_DEP_3)
	v_add_f64_e64 v[18:19], v[18:19], -v[20:21]
	v_mul_f64_e32 v[20:21], s[20:21], v[206:207]
	v_mul_f64_e32 v[16:17], s[14:15], v[218:219]
	v_add_f64_e32 v[14:15], v[18:19], v[14:15]
	s_clause 0x1
	scratch_load_b64 v[18:19], off, off offset:628 th:TH_LOAD_LU
	scratch_load_b64 v[32:33], off, off offset:596 th:TH_LOAD_LU
	v_add_f64_e32 v[20:21], v[22:23], v[20:21]
	v_mul_f64_e32 v[22:23], s[20:21], v[194:195]
	s_delay_alu instid0(VALU_DEP_2) | instskip(NEXT) | instid1(VALU_DEP_2)
	v_add_f64_e32 v[12:13], v[20:21], v[12:13]
	v_add_f64_e64 v[22:23], v[22:23], -v[24:25]
	v_mul_f64_e32 v[24:25], s[18:19], v[214:215]
	scratch_load_b64 v[20:21], off, off offset:708 th:TH_LOAD_LU ; 8-byte Folded Reload
	v_add_f64_e32 v[14:15], v[22:23], v[14:15]
	v_add_f64_e32 v[24:25], v[26:27], v[24:25]
	scratch_load_b64 v[22:23], off, off offset:644 th:TH_LOAD_LU ; 8-byte Folded Reload
	v_mul_f64_e32 v[26:27], s[18:19], v[202:203]
	v_add_f64_e32 v[12:13], v[24:25], v[12:13]
	scratch_load_b64 v[24:25], off, off offset:724 th:TH_LOAD_LU ; 8-byte Folded Reload
	v_add_f64_e64 v[26:27], v[26:27], -v[28:29]
	v_mul_f64_e32 v[28:29], s[16:17], v[226:227]
	s_delay_alu instid0(VALU_DEP_2) | instskip(NEXT) | instid1(VALU_DEP_2)
	v_add_f64_e32 v[14:15], v[26:27], v[14:15]
	v_add_f64_e32 v[28:29], v[30:31], v[28:29]
	v_mul_f64_e32 v[30:31], s[16:17], v[210:211]
	s_delay_alu instid0(VALU_DEP_2) | instskip(SKIP_4) | instid1(VALU_DEP_4)
	v_add_f64_e32 v[12:13], v[28:29], v[12:13]
	s_wait_loadcnt 0x4
	v_add_f64_e64 v[16:17], v[16:17], -v[18:19]
	v_mul_f64_e32 v[18:19], s[8:9], v[238:239]
	s_wait_loadcnt 0x3
	v_add_f64_e64 v[30:31], v[30:31], -v[32:33]
	v_mul_f64_e32 v[32:33], s[14:15], v[234:235]
	s_delay_alu instid0(VALU_DEP_2) | instskip(NEXT) | instid1(VALU_DEP_2)
	v_add_f64_e32 v[14:15], v[30:31], v[14:15]
	v_add_f64_e32 v[32:33], v[34:35], v[32:33]
	s_wait_loadcnt 0x2
	v_add_f64_e32 v[18:19], v[20:21], v[18:19]
	v_mul_f64_e32 v[20:21], s[8:9], v[222:223]
	s_delay_alu instid0(VALU_DEP_4) | instskip(NEXT) | instid1(VALU_DEP_4)
	v_add_f64_e32 v[14:15], v[16:17], v[14:15]
	v_add_f64_e32 v[12:13], v[32:33], v[12:13]
	v_mul_f64_e32 v[16:17], s[2:3], v[230:231]
	s_wait_loadcnt 0x1
	s_delay_alu instid0(VALU_DEP_4) | instskip(SKIP_1) | instid1(VALU_DEP_4)
	v_add_f64_e64 v[20:21], v[20:21], -v[22:23]
	v_mul_f64_e32 v[22:23], s[2:3], v[242:243]
	v_add_f64_e32 v[12:13], v[18:19], v[12:13]
	s_delay_alu instid0(VALU_DEP_3) | instskip(SKIP_1) | instid1(VALU_DEP_3)
	v_add_f64_e32 v[18:19], v[20:21], v[14:15]
	s_wait_loadcnt 0x0
	v_add_f64_e32 v[22:23], v[24:25], v[22:23]
	scratch_load_b64 v[24:25], off, off offset:676 th:TH_LOAD_LU ; 8-byte Folded Reload
	v_add_f64_e32 v[14:15], v[22:23], v[12:13]
	s_wait_loadcnt 0x0
	v_add_f64_e64 v[16:17], v[16:17], -v[24:25]
	s_delay_alu instid0(VALU_DEP_1)
	v_add_f64_e32 v[12:13], v[16:17], v[18:19]
	scratch_load_b32 v16, off, off offset:788 ; 4-byte Folded Reload
	s_wait_loadcnt 0x0
	v_lshl_add_u32 v16, v16, 4, v217
	ds_store_b128 v16, v[8:11] offset:32
	ds_store_b128 v16, v[4:7] offset:48
	;; [unrolled: 1-line block ×3, first 2 shown]
	scratch_load_b128 v[4:7], off, off offset:60 ; 16-byte Folded Reload
	s_wait_loadcnt 0x0
	ds_store_b128 v16, v[4:7] offset:64
	scratch_load_b128 v[4:7], off, off offset:92 ; 16-byte Folded Reload
	s_wait_loadcnt 0x0
	ds_store_b128 v16, v[4:7] offset:80
	;; [unrolled: 3-line block ×12, first 2 shown]
	ds_store_b128 v16, v[0:3]
	scratch_load_b128 v[0:3], off, off offset:12 ; 16-byte Folded Reload
	s_wait_loadcnt 0x0
	ds_store_b128 v16, v[0:3] offset:256
.LBB0_7:
	s_wait_alu 0xfffe
	s_or_b32 exec_lo, exec_lo, s26
	v_lshlrev_b32_e32 v0, 5, v216
	global_wb scope:SCOPE_SE
	s_wait_storecnt_dscnt 0x0
	s_barrier_signal -1
	s_barrier_wait -1
	global_inv scope:SCOPE_SE
	s_clause 0x1
	global_load_b128 v[204:207], v0, s[0:1]
	global_load_b128 v[100:103], v0, s[0:1] offset:16
	v_add_nc_u16 v0, v216, 34
	s_mov_b32 s2, 0xe8584caa
	s_mov_b32 s3, 0x3febb67a
	;; [unrolled: 1-line block ×3, first 2 shown]
	s_wait_alu 0xfffe
	s_mov_b32 s8, s2
	v_and_b32_e32 v1, 0xff, v0
	s_mov_b32 s16, 0x37c3f68c
	s_mov_b32 s22, 0x37e14327
	;; [unrolled: 1-line block ×4, first 2 shown]
	v_mul_lo_u16 v1, 0xf1, v1
	s_mov_b32 s14, 0x5476071b
	s_mov_b32 s18, 0xaaaaaaaa
	;; [unrolled: 1-line block ×4, first 2 shown]
	v_lshrrev_b16 v1, 12, v1
	s_mov_b32 s19, 0xbff2aaaa
	s_mov_b32 s25, 0xbfe77f67
	;; [unrolled: 1-line block ×4, first 2 shown]
	v_mul_lo_u16 v1, v1, 17
	s_wait_alu 0xfffe
	s_mov_b32 s26, s20
	s_mov_b32 s24, s14
	v_lshl_add_u32 v213, v160, 4, v70
	v_sub_nc_u16 v36, v0, v1
	s_delay_alu instid0(VALU_DEP_1) | instskip(NEXT) | instid1(VALU_DEP_1)
	v_lshlrev_b16 v0, 1, v36
	v_and_b32_e32 v0, 0xfe, v0
	s_delay_alu instid0(VALU_DEP_1) | instskip(SKIP_4) | instid1(VALU_DEP_1)
	v_lshlrev_b32_e32 v0, 4, v0
	s_clause 0x1
	global_load_b128 v[208:211], v0, s[0:1]
	global_load_b128 v[124:127], v0, s[0:1] offset:16
	v_add_nc_u16 v0, v216, 51
	v_and_b32_e32 v1, 0xff, v0
	s_delay_alu instid0(VALU_DEP_1) | instskip(NEXT) | instid1(VALU_DEP_1)
	v_mul_lo_u16 v1, 0xf1, v1
	v_lshrrev_b16 v1, 12, v1
	s_delay_alu instid0(VALU_DEP_1) | instskip(NEXT) | instid1(VALU_DEP_1)
	v_mul_lo_u16 v1, v1, 17
	v_sub_nc_u16 v37, v0, v1
	s_delay_alu instid0(VALU_DEP_1) | instskip(NEXT) | instid1(VALU_DEP_1)
	v_lshlrev_b16 v0, 1, v37
	v_and_b32_e32 v0, 0xfe, v0
	s_delay_alu instid0(VALU_DEP_1)
	v_lshlrev_b32_e32 v30, 4, v0
	global_load_b128 v[196:199], v30, s[0:1]
	ds_load_b128 v[0:3], v99 offset:1904
	ds_load_b128 v[4:7], v99 offset:3808
	global_load_b128 v[229:232], v30, s[0:1] offset:16
	ds_load_b128 v[8:11], v99 offset:2176
	ds_load_b128 v[12:15], v99 offset:4080
	;; [unrolled: 1-line block ×4, first 2 shown]
	s_wait_loadcnt_dscnt 0x505
	v_mul_f64_e32 v[18:19], v[0:1], v[206:207]
	s_wait_loadcnt_dscnt 0x404
	v_mul_f64_e32 v[20:21], v[6:7], v[102:103]
	v_mul_f64_e32 v[16:17], v[2:3], v[206:207]
	;; [unrolled: 1-line block ×3, first 2 shown]
	s_delay_alu instid0(VALU_DEP_4) | instskip(NEXT) | instid1(VALU_DEP_4)
	v_fma_f64 v[47:48], v[2:3], v[204:205], v[18:19]
	v_fma_f64 v[49:50], v[4:5], v[100:101], -v[20:21]
	ds_load_b128 v[2:5], v99 offset:2448
	s_wait_dscnt 0x4
	v_mul_f64_e32 v[24:25], v[10:11], v[206:207]
	v_mul_f64_e32 v[26:27], v[8:9], v[206:207]
	v_fma_f64 v[45:46], v[0:1], v[204:205], -v[16:17]
	v_fma_f64 v[51:52], v[6:7], v[100:101], v[22:23]
	s_wait_loadcnt_dscnt 0x300
	v_mul_f64_e32 v[16:17], v[2:3], v[210:211]
	v_mul_f64_e32 v[6:7], v[4:5], v[210:211]
	v_fma_f64 v[57:58], v[8:9], v[204:205], -v[24:25]
	v_fma_f64 v[59:60], v[10:11], v[204:205], v[26:27]
	ds_load_b128 v[8:11], v99 offset:4352
	v_mul_f64_e32 v[28:29], v[14:15], v[102:103]
	v_mul_f64_e32 v[0:1], v[12:13], v[102:103]
	v_add_f64_e32 v[55:56], v[47:48], v[51:52]
	v_add_f64_e32 v[53:54], v[45:46], v[49:50]
	v_fma_f64 v[2:3], v[2:3], v[208:209], -v[6:7]
	v_fma_f64 v[61:62], v[12:13], v[100:101], -v[28:29]
	v_fma_f64 v[12:13], v[4:5], v[208:209], v[16:17]
	s_wait_loadcnt_dscnt 0x200
	v_mul_f64_e32 v[4:5], v[8:9], v[126:127]
	v_fma_f64 v[63:64], v[14:15], v[100:101], v[0:1]
	v_mul_f64_e32 v[0:1], v[10:11], v[126:127]
	ds_load_b128 v[26:29], v99 offset:3264
	ds_load_b128 v[16:19], v99 offset:4624
	v_add_f64_e32 v[65:66], v[57:58], v[61:62]
	v_fma_f64 v[14:15], v[10:11], v[124:125], v[4:5]
	ds_load_b128 v[4:7], v99 offset:2720
	v_fma_f64 v[8:9], v[8:9], v[124:125], -v[0:1]
	s_wait_loadcnt_dscnt 0x1
	v_mul_f64_e32 v[10:11], v[16:17], v[231:232]
	v_add_f64_e32 v[67:68], v[59:60], v[63:64]
	s_wait_dscnt 0x0
	v_mul_f64_e32 v[0:1], v[6:7], v[198:199]
	s_delay_alu instid0(VALU_DEP_1) | instskip(SKIP_1) | instid1(VALU_DEP_1)
	v_fma_f64 v[0:1], v[4:5], v[196:197], -v[0:1]
	v_mul_f64_e32 v[4:5], v[4:5], v[198:199]
	v_fma_f64 v[4:5], v[6:7], v[196:197], v[4:5]
	v_mul_f64_e32 v[6:7], v[18:19], v[231:232]
	s_delay_alu instid0(VALU_DEP_1) | instskip(SKIP_4) | instid1(VALU_DEP_1)
	v_fma_f64 v[6:7], v[16:17], v[229:230], -v[6:7]
	v_fma_f64 v[16:17], v[18:19], v[229:230], v[10:11]
	v_add_nc_u16 v10, v216, 0x44
	ds_load_b128 v[18:21], v99 offset:2992
	v_and_b32_e32 v11, 0xff, v10
	v_mul_lo_u16 v11, 0xf1, v11
	s_delay_alu instid0(VALU_DEP_1) | instskip(NEXT) | instid1(VALU_DEP_1)
	v_lshrrev_b16 v11, 12, v11
	v_mul_lo_u16 v11, v11, 17
	s_delay_alu instid0(VALU_DEP_1) | instskip(NEXT) | instid1(VALU_DEP_1)
	v_sub_nc_u16 v38, v10, v11
	v_lshlrev_b16 v10, 1, v38
	s_delay_alu instid0(VALU_DEP_1) | instskip(NEXT) | instid1(VALU_DEP_1)
	v_and_b32_e32 v10, 0xfe, v10
	v_lshlrev_b32_e32 v22, 4, v10
	s_clause 0x1
	global_load_b128 v[233:236], v22, s[0:1]
	global_load_b128 v[225:228], v22, s[0:1] offset:16
	ds_load_b128 v[22:25], v99 offset:4896
	s_wait_loadcnt_dscnt 0x101
	v_mul_f64_e32 v[10:11], v[20:21], v[235:236]
	s_delay_alu instid0(VALU_DEP_1) | instskip(SKIP_1) | instid1(VALU_DEP_1)
	v_fma_f64 v[10:11], v[18:19], v[233:234], -v[10:11]
	v_mul_f64_e32 v[18:19], v[18:19], v[235:236]
	v_fma_f64 v[18:19], v[20:21], v[233:234], v[18:19]
	s_wait_loadcnt_dscnt 0x0
	v_mul_f64_e32 v[20:21], v[24:25], v[227:228]
	s_delay_alu instid0(VALU_DEP_1) | instskip(SKIP_1) | instid1(VALU_DEP_1)
	v_fma_f64 v[20:21], v[22:23], v[225:226], -v[20:21]
	v_mul_f64_e32 v[22:23], v[22:23], v[227:228]
	v_fma_f64 v[24:25], v[24:25], v[225:226], v[22:23]
	v_add_nc_u16 v22, v216, 0x55
	s_delay_alu instid0(VALU_DEP_1) | instskip(NEXT) | instid1(VALU_DEP_1)
	v_and_b32_e32 v23, 0xff, v22
	v_mul_lo_u16 v23, 0xf1, v23
	s_delay_alu instid0(VALU_DEP_1) | instskip(NEXT) | instid1(VALU_DEP_1)
	v_lshrrev_b16 v23, 12, v23
	v_mul_lo_u16 v23, v23, 17
	s_delay_alu instid0(VALU_DEP_1) | instskip(NEXT) | instid1(VALU_DEP_1)
	v_sub_nc_u16 v39, v22, v23
	v_lshlrev_b16 v22, 1, v39
	s_delay_alu instid0(VALU_DEP_1) | instskip(NEXT) | instid1(VALU_DEP_1)
	v_and_b32_e32 v22, 0xfe, v22
	v_lshlrev_b32_e32 v30, 4, v22
	s_clause 0x1
	global_load_b128 v[221:224], v30, s[0:1]
	global_load_b128 v[200:203], v30, s[0:1] offset:16
	ds_load_b128 v[30:33], v99 offset:5168
	s_wait_loadcnt 0x1
	v_mul_f64_e32 v[22:23], v[28:29], v[223:224]
	s_delay_alu instid0(VALU_DEP_1) | instskip(SKIP_1) | instid1(VALU_DEP_1)
	v_fma_f64 v[22:23], v[26:27], v[221:222], -v[22:23]
	v_mul_f64_e32 v[26:27], v[26:27], v[223:224]
	v_fma_f64 v[26:27], v[28:29], v[221:222], v[26:27]
	s_wait_loadcnt_dscnt 0x0
	v_mul_f64_e32 v[28:29], v[32:33], v[202:203]
	s_delay_alu instid0(VALU_DEP_1) | instskip(SKIP_1) | instid1(VALU_DEP_1)
	v_fma_f64 v[28:29], v[30:31], v[200:201], -v[28:29]
	v_mul_f64_e32 v[30:31], v[30:31], v[202:203]
	v_fma_f64 v[32:33], v[32:33], v[200:201], v[30:31]
	v_add_nc_u16 v30, v216, 0x66
	s_delay_alu instid0(VALU_DEP_1) | instskip(NEXT) | instid1(VALU_DEP_1)
	v_and_b32_e32 v31, 0xff, v30
	v_mul_lo_u16 v31, 0xf1, v31
	s_delay_alu instid0(VALU_DEP_1) | instskip(NEXT) | instid1(VALU_DEP_1)
	v_lshrrev_b16 v31, 12, v31
	v_mul_lo_u16 v31, v31, 17
	s_delay_alu instid0(VALU_DEP_1) | instskip(NEXT) | instid1(VALU_DEP_1)
	v_sub_nc_u16 v40, v30, v31
	v_lshlrev_b16 v30, 1, v40
	s_delay_alu instid0(VALU_DEP_1) | instskip(NEXT) | instid1(VALU_DEP_1)
	v_and_b32_e32 v30, 0xfe, v30
	v_lshlrev_b32_e32 v69, 4, v30
	s_clause 0x1
	global_load_b128 v[132:135], v69, s[0:1]
	global_load_b128 v[75:78], v69, s[0:1] offset:16
	s_wait_loadcnt 0x1
	v_mul_f64_e32 v[30:31], v[43:44], v[134:135]
	v_mul_f64_e32 v[34:35], v[41:42], v[134:135]
	s_wait_loadcnt 0x0
	scratch_store_b128 off, v[75:78], off offset:548 ; 16-byte Folded Spill
	v_fma_f64 v[30:31], v[41:42], v[132:133], -v[30:31]
	v_fma_f64 v[34:35], v[43:44], v[132:133], v[34:35]
	ds_load_b128 v[41:44], v99
	s_wait_dscnt 0x0
	v_fma_f64 v[55:56], v[55:56], -0.5, v[43:44]
	v_add_f64_e32 v[43:44], v[43:44], v[47:48]
	v_fma_f64 v[53:54], v[53:54], -0.5, v[41:42]
	v_add_f64_e32 v[41:42], v[41:42], v[45:46]
	v_add_f64_e64 v[47:48], v[47:48], -v[51:52]
	s_delay_alu instid0(VALU_DEP_4) | instskip(SKIP_1) | instid1(VALU_DEP_4)
	v_add_f64_e32 v[43:44], v[43:44], v[51:52]
	v_add_f64_e64 v[51:52], v[45:46], -v[49:50]
	v_add_f64_e32 v[41:42], v[41:42], v[49:50]
	s_delay_alu instid0(VALU_DEP_4) | instskip(SKIP_1) | instid1(VALU_DEP_4)
	v_fma_f64 v[45:46], v[47:48], s[2:3], v[53:54]
	v_fma_f64 v[49:50], v[47:48], s[8:9], v[53:54]
	;; [unrolled: 1-line block ×4, first 2 shown]
	ds_load_b128 v[53:56], v99 offset:272
	s_wait_dscnt 0x0
	v_fma_f64 v[67:68], v[67:68], -0.5, v[55:56]
	v_add_f64_e32 v[55:56], v[55:56], v[59:60]
	v_fma_f64 v[65:66], v[65:66], -0.5, v[53:54]
	v_add_f64_e32 v[53:54], v[53:54], v[57:58]
	v_add_f64_e64 v[59:60], v[59:60], -v[63:64]
	s_delay_alu instid0(VALU_DEP_4) | instskip(SKIP_1) | instid1(VALU_DEP_4)
	v_add_f64_e32 v[55:56], v[55:56], v[63:64]
	v_add_f64_e64 v[63:64], v[57:58], -v[61:62]
	v_add_f64_e32 v[53:54], v[53:54], v[61:62]
	s_delay_alu instid0(VALU_DEP_4)
	v_fma_f64 v[57:58], v[59:60], s[2:3], v[65:66]
	v_fma_f64 v[61:62], v[59:60], s[8:9], v[65:66]
	v_mul_f64_e32 v[65:66], v[73:74], v[77:78]
	v_fma_f64 v[59:60], v[63:64], s[8:9], v[67:68]
	v_fma_f64 v[63:64], v[63:64], s[2:3], v[67:68]
	v_mul_f64_e32 v[67:68], v[71:72], v[77:78]
	s_delay_alu instid0(VALU_DEP_4) | instskip(NEXT) | instid1(VALU_DEP_2)
	v_fma_f64 v[65:66], v[71:72], v[75:76], -v[65:66]
	v_fma_f64 v[67:68], v[73:74], v[75:76], v[67:68]
	ds_load_b128 v[71:74], v99 offset:1632
	ds_load_b128 v[75:78], v99 offset:544
	;; [unrolled: 1-line block ×5, first 2 shown]
	global_wb scope:SCOPE_SE
	s_wait_storecnt_dscnt 0x0
	s_barrier_signal -1
	s_barrier_wait -1
	global_inv scope:SCOPE_SE
	ds_store_b128 v99, v[41:44]
	ds_store_b128 v99, v[53:56] offset:816
	ds_store_b128 v99, v[45:48] offset:272
	;; [unrolled: 1-line block ×5, first 2 shown]
	v_add_f64_e32 v[41:42], v[2:3], v[8:9]
	v_add_f64_e64 v[49:50], v[12:13], -v[14:15]
	v_add_f64_e64 v[53:54], v[4:5], -v[16:17]
	;; [unrolled: 1-line block ×4, first 2 shown]
	v_add_f64_e32 v[45:46], v[75:76], v[2:3]
	v_add_f64_e64 v[2:3], v[2:3], -v[8:9]
	v_fma_f64 v[43:44], v[41:42], -0.5, v[75:76]
	v_add_f64_e32 v[41:42], v[12:13], v[14:15]
	s_delay_alu instid0(VALU_DEP_1) | instskip(SKIP_3) | instid1(VALU_DEP_3)
	v_fma_f64 v[47:48], v[41:42], -0.5, v[77:78]
	v_add_f64_e32 v[41:42], v[77:78], v[12:13]
	v_add_f64_e32 v[12:13], v[45:46], v[8:9]
	v_fma_f64 v[45:46], v[49:50], s[8:9], v[43:44]
	v_add_f64_e32 v[14:15], v[41:42], v[14:15]
	v_fma_f64 v[41:42], v[49:50], s[2:3], v[43:44]
	v_fma_f64 v[43:44], v[2:3], s[8:9], v[47:48]
	;; [unrolled: 1-line block ×3, first 2 shown]
	v_add_f64_e32 v[2:3], v[0:1], v[6:7]
	v_add_f64_e32 v[49:50], v[79:80], v[0:1]
	v_add_f64_e64 v[0:1], v[0:1], -v[6:7]
	s_delay_alu instid0(VALU_DEP_3) | instskip(SKIP_1) | instid1(VALU_DEP_1)
	v_fma_f64 v[8:9], v[2:3], -0.5, v[79:80]
	v_add_f64_e32 v[2:3], v[4:5], v[16:17]
	v_fma_f64 v[51:52], v[2:3], -0.5, v[81:82]
	v_add_f64_e32 v[2:3], v[81:82], v[4:5]
	s_delay_alu instid0(VALU_DEP_1)
	v_add_f64_e32 v[4:5], v[2:3], v[16:17]
	v_add_f64_e32 v[2:3], v[49:50], v[6:7]
	v_fma_f64 v[6:7], v[53:54], s[2:3], v[8:9]
	v_fma_f64 v[49:50], v[53:54], s[8:9], v[8:9]
	;; [unrolled: 1-line block ×4, first 2 shown]
	v_add_f64_e32 v[0:1], v[10:11], v[20:21]
	v_add_f64_e32 v[16:17], v[18:19], v[24:25]
	;; [unrolled: 1-line block ×3, first 2 shown]
	v_add_f64_e64 v[10:11], v[10:11], -v[20:21]
	s_delay_alu instid0(VALU_DEP_4) | instskip(NEXT) | instid1(VALU_DEP_4)
	v_fma_f64 v[0:1], v[0:1], -0.5, v[83:84]
	v_fma_f64 v[59:60], v[16:17], -0.5, v[85:86]
	v_add_f64_e32 v[16:17], v[85:86], v[18:19]
	s_delay_alu instid0(VALU_DEP_3) | instskip(NEXT) | instid1(VALU_DEP_2)
	v_fma_f64 v[57:58], v[55:56], s[8:9], v[0:1]
	v_add_f64_e32 v[18:19], v[16:17], v[24:25]
	v_add_f64_e32 v[16:17], v[53:54], v[20:21]
	v_fma_f64 v[53:54], v[55:56], s[2:3], v[0:1]
	v_add_f64_e32 v[0:1], v[22:23], v[28:29]
	v_fma_f64 v[55:56], v[10:11], s[8:9], v[59:60]
	v_fma_f64 v[59:60], v[10:11], s[2:3], v[59:60]
	v_add_f64_e32 v[10:11], v[26:27], v[32:33]
	v_add_f64_e32 v[24:25], v[87:88], v[22:23]
	;; [unrolled: 1-line block ×3, first 2 shown]
	v_fma_f64 v[0:1], v[0:1], -0.5, v[87:88]
	s_delay_alu instid0(VALU_DEP_4) | instskip(NEXT) | instid1(VALU_DEP_4)
	v_fma_f64 v[10:11], v[10:11], -0.5, v[89:90]
	v_add_f64_e32 v[24:25], v[24:25], v[28:29]
	v_add_f64_e64 v[28:29], v[22:23], -v[28:29]
	v_add_f64_e32 v[26:27], v[20:21], v[32:33]
	v_add_f64_e32 v[32:33], v[71:72], v[30:31]
	v_fma_f64 v[20:21], v[61:62], s[2:3], v[0:1]
	v_fma_f64 v[61:62], v[61:62], s[8:9], v[0:1]
	v_add_f64_e32 v[0:1], v[30:31], v[65:66]
	v_fma_f64 v[22:23], v[28:29], s[8:9], v[10:11]
	v_fma_f64 v[63:64], v[28:29], s[2:3], v[10:11]
	v_add_f64_e32 v[10:11], v[34:35], v[67:68]
	v_add_f64_e32 v[28:29], v[73:74], v[34:35]
	;; [unrolled: 1-line block ×3, first 2 shown]
	v_add_f64_e64 v[65:66], v[30:31], -v[65:66]
	v_fma_f64 v[0:1], v[0:1], -0.5, v[71:72]
	v_add_f64_e64 v[71:72], v[34:35], -v[67:68]
	v_fma_f64 v[10:11], v[10:11], -0.5, v[73:74]
	v_add_f64_e32 v[34:35], v[28:29], v[67:68]
	s_delay_alu instid0(VALU_DEP_3)
	v_fma_f64 v[28:29], v[71:72], s[2:3], v[0:1]
	v_fma_f64 v[71:72], v[71:72], s[8:9], v[0:1]
	v_and_b32_e32 v0, 0xff, v36
	v_fma_f64 v[30:31], v[65:66], s[8:9], v[10:11]
	v_fma_f64 v[73:74], v[65:66], s[2:3], v[10:11]
	s_mov_b32 s8, 0xe976ee23
	s_delay_alu instid0(VALU_DEP_3) | instskip(SKIP_4) | instid1(VALU_DEP_1)
	v_lshl_add_u32 v238, v0, 4, v217
	v_and_b32_e32 v0, 0xff, v37
	s_mov_b32 s9, 0xbfe11646
	s_mov_b32 s2, 0x429ad128
	s_mov_b32 s3, 0x3febfeb5
	v_lshl_add_u32 v220, v0, 4, v217
	v_and_b32_e32 v0, 0xff, v38
	ds_store_b128 v238, v[12:15] offset:1632
	ds_store_b128 v220, v[2:5] offset:2448
	v_lshl_add_u32 v219, v0, 4, v217
	v_and_b32_e32 v0, 0xff, v39
	s_delay_alu instid0(VALU_DEP_1)
	v_lshl_add_u32 v218, v0, 4, v217
	v_and_b32_e32 v0, 0xff, v40
	ds_store_b128 v219, v[16:19] offset:3264
	ds_store_b128 v218, v[24:27] offset:4080
	v_lshl_add_u32 v237, v0, 4, v217
	ds_store_b128 v237, v[32:35] offset:4896
	ds_store_b128 v238, v[41:44] offset:1904
	;; [unrolled: 1-line block ×11, first 2 shown]
	v_mad_co_u64_u32 v[48:49], null, 0x60, v216, s[0:1]
	global_wb scope:SCOPE_SE
	s_wait_dscnt 0x0
	s_barrier_signal -1
	s_barrier_wait -1
	global_inv scope:SCOPE_SE
	ds_load_b128 v[0:3], v99 offset:816
	s_mov_b32 s0, 0x36b3c0b5
	s_clause 0x1
	global_load_b128 v[6:9], v[48:49], off offset:544
	global_load_b128 v[40:43], v[48:49], off offset:576
	s_mov_b32 s1, 0x3fac98ee
	s_clause 0x5
	global_load_b128 v[44:47], v[48:49], off offset:2208
	global_load_b128 v[10:13], v[48:49], off offset:3824
	;; [unrolled: 1-line block ×6, first 2 shown]
	s_wait_loadcnt_dscnt 0x700
	v_mul_f64_e32 v[4:5], v[2:3], v[8:9]
	scratch_store_b128 off, v[6:9], off offset:500 ; 16-byte Folded Spill
	s_wait_loadcnt 0x6
	scratch_store_b128 off, v[40:43], off offset:792 ; 16-byte Folded Spill
	s_wait_loadcnt 0x5
	;; [unrolled: 2-line block ×7, first 2 shown]
	scratch_store_b128 off, v[54:57], off offset:580 ; 16-byte Folded Spill
	v_fma_f64 v[50:51], v[0:1], v[6:7], -v[4:5]
	v_mul_f64_e32 v[0:1], v[0:1], v[8:9]
	s_delay_alu instid0(VALU_DEP_1)
	v_fma_f64 v[52:53], v[2:3], v[6:7], v[0:1]
	global_load_b128 v[6:9], v[48:49], off offset:560
	ds_load_b128 v[0:3], v99 offset:1632
	s_wait_loadcnt_dscnt 0x0
	v_mul_f64_e32 v[4:5], v[2:3], v[8:9]
	scratch_store_b128 off, v[6:9], off offset:772 ; 16-byte Folded Spill
	v_fma_f64 v[66:67], v[0:1], v[6:7], -v[4:5]
	v_mul_f64_e32 v[0:1], v[0:1], v[8:9]
	s_delay_alu instid0(VALU_DEP_1)
	v_fma_f64 v[68:69], v[2:3], v[6:7], v[0:1]
	global_load_b128 v[6:9], v[48:49], off offset:608
	ds_load_b128 v[0:3], v99 offset:4080
	s_wait_loadcnt_dscnt 0x0
	v_mul_f64_e32 v[4:5], v[2:3], v[8:9]
	scratch_store_b128 off, v[6:9], off offset:756 ; 16-byte Folded Spill
	v_fma_f64 v[71:72], v[0:1], v[6:7], -v[4:5]
	v_mul_f64_e32 v[0:1], v[0:1], v[8:9]
	s_delay_alu instid0(VALU_DEP_2) | instskip(NEXT) | instid1(VALU_DEP_2)
	v_add_f64_e32 v[87:88], v[66:67], v[71:72]
	v_fma_f64 v[73:74], v[2:3], v[6:7], v[0:1]
	global_load_b128 v[6:9], v[48:49], off offset:624
	ds_load_b128 v[0:3], v99 offset:4896
	v_add_f64_e64 v[66:67], v[66:67], -v[71:72]
	v_add_f64_e32 v[95:96], v[68:69], v[73:74]
	v_add_f64_e64 v[68:69], v[68:69], -v[73:74]
	s_wait_loadcnt_dscnt 0x0
	v_mul_f64_e32 v[4:5], v[2:3], v[8:9]
	scratch_store_b128 off, v[6:9], off offset:644 ; 16-byte Folded Spill
	v_fma_f64 v[75:76], v[0:1], v[6:7], -v[4:5]
	v_mul_f64_e32 v[0:1], v[0:1], v[8:9]
	s_delay_alu instid0(VALU_DEP_1)
	v_fma_f64 v[77:78], v[2:3], v[6:7], v[0:1]
	global_load_b128 v[6:9], v[48:49], off offset:2176
	ds_load_b128 v[0:3], v99 offset:1088
	v_add_f64_e32 v[93:94], v[52:53], v[77:78]
	v_add_f64_e64 v[77:78], v[52:53], -v[77:78]
	s_wait_loadcnt_dscnt 0x0
	v_mul_f64_e32 v[4:5], v[2:3], v[8:9]
	scratch_store_b128 off, v[6:9], off offset:628 ; 16-byte Folded Spill
	v_fma_f64 v[16:17], v[0:1], v[6:7], -v[4:5]
	v_mul_f64_e32 v[0:1], v[0:1], v[8:9]
	s_delay_alu instid0(VALU_DEP_1)
	v_fma_f64 v[18:19], v[2:3], v[6:7], v[0:1]
	global_load_b128 v[6:9], v[48:49], off offset:2192
	ds_load_b128 v[0:3], v99 offset:1904
	s_wait_loadcnt_dscnt 0x0
	v_mul_f64_e32 v[4:5], v[2:3], v[8:9]
	scratch_store_b128 off, v[6:9], off offset:612 ; 16-byte Folded Spill
	v_fma_f64 v[24:25], v[0:1], v[6:7], -v[4:5]
	v_mul_f64_e32 v[0:1], v[0:1], v[8:9]
	s_delay_alu instid0(VALU_DEP_1)
	v_fma_f64 v[26:27], v[2:3], v[6:7], v[0:1]
	global_load_b128 v[6:9], v[48:49], off offset:2240
	ds_load_b128 v[0:3], v99 offset:4352
	s_wait_loadcnt_dscnt 0x0
	v_mul_f64_e32 v[4:5], v[2:3], v[8:9]
	scratch_store_b128 off, v[6:9], off offset:596 ; 16-byte Folded Spill
	v_fma_f64 v[32:33], v[0:1], v[6:7], -v[4:5]
	v_mul_f64_e32 v[0:1], v[0:1], v[8:9]
	s_delay_alu instid0(VALU_DEP_2) | instskip(NEXT) | instid1(VALU_DEP_2)
	v_add_f64_e32 v[108:109], v[24:25], v[32:33]
	v_fma_f64 v[34:35], v[2:3], v[6:7], v[0:1]
	global_load_b128 v[6:9], v[48:49], off offset:2256
	ds_load_b128 v[0:3], v99 offset:5168
	v_add_f64_e64 v[24:25], v[24:25], -v[32:33]
	v_add_f64_e32 v[116:117], v[26:27], v[34:35]
	v_add_f64_e64 v[26:27], v[26:27], -v[34:35]
	s_wait_loadcnt_dscnt 0x0
	v_mul_f64_e32 v[4:5], v[2:3], v[8:9]
	scratch_store_b128 off, v[6:9], off offset:724 ; 16-byte Folded Spill
	v_fma_f64 v[36:37], v[0:1], v[6:7], -v[4:5]
	v_mul_f64_e32 v[0:1], v[0:1], v[8:9]
	s_delay_alu instid0(VALU_DEP_2) | instskip(NEXT) | instid1(VALU_DEP_2)
	v_add_f64_e32 v[106:107], v[16:17], v[36:37]
	v_fma_f64 v[38:39], v[2:3], v[6:7], v[0:1]
	global_load_b128 v[6:9], v[48:49], off offset:3808
	ds_load_b128 v[2:5], v99 offset:1360
	v_add_f64_e64 v[34:35], v[16:17], -v[36:37]
	v_add_f64_e32 v[114:115], v[18:19], v[38:39]
	v_add_f64_e64 v[38:39], v[18:19], -v[38:39]
	s_wait_loadcnt_dscnt 0x0
	v_mul_f64_e32 v[0:1], v[4:5], v[8:9]
	scratch_store_b128 off, v[6:9], off offset:660 ; 16-byte Folded Spill
	v_fma_f64 v[0:1], v[2:3], v[6:7], -v[0:1]
	v_mul_f64_e32 v[2:3], v[2:3], v[8:9]
	s_delay_alu instid0(VALU_DEP_1) | instskip(SKIP_3) | instid1(VALU_DEP_1)
	v_fma_f64 v[2:3], v[4:5], v[6:7], v[2:3]
	ds_load_b128 v[6:9], v99 offset:2176
	s_wait_dscnt 0x0
	v_mul_f64_e32 v[4:5], v[8:9], v[12:13]
	v_fma_f64 v[4:5], v[6:7], v[10:11], -v[4:5]
	v_mul_f64_e32 v[6:7], v[6:7], v[12:13]
	s_delay_alu instid0(VALU_DEP_1) | instskip(SKIP_3) | instid1(VALU_DEP_1)
	v_fma_f64 v[6:7], v[8:9], v[10:11], v[6:7]
	ds_load_b128 v[10:13], v99 offset:5440
	s_wait_dscnt 0x0
	v_mul_f64_e32 v[8:9], v[12:13], v[22:23]
	v_fma_f64 v[8:9], v[10:11], v[20:21], -v[8:9]
	v_mul_f64_e32 v[10:11], v[10:11], v[22:23]
	s_delay_alu instid0(VALU_DEP_2) | instskip(NEXT) | instid1(VALU_DEP_2)
	v_add_f64_e32 v[122:123], v[0:1], v[8:9]
	v_fma_f64 v[10:11], v[12:13], v[20:21], v[10:11]
	ds_load_b128 v[20:23], v99 offset:4624
	v_add_f64_e64 v[0:1], v[0:1], -v[8:9]
	s_wait_dscnt 0x0
	v_mul_f64_e32 v[12:13], v[22:23], v[30:31]
	v_mul_f64_e32 v[14:15], v[20:21], v[30:31]
	v_add_f64_e32 v[138:139], v[2:3], v[10:11]
	v_add_f64_e64 v[2:3], v[2:3], -v[10:11]
	s_delay_alu instid0(VALU_DEP_4) | instskip(NEXT) | instid1(VALU_DEP_4)
	v_fma_f64 v[12:13], v[20:21], v[28:29], -v[12:13]
	v_fma_f64 v[14:15], v[22:23], v[28:29], v[14:15]
	ds_load_b128 v[20:23], v99 offset:2448
	s_wait_dscnt 0x0
	v_mul_f64_e32 v[28:29], v[22:23], v[42:43]
	v_add_f64_e32 v[128:129], v[4:5], v[12:13]
	v_add_f64_e32 v[140:141], v[6:7], v[14:15]
	v_add_f64_e64 v[6:7], v[6:7], -v[14:15]
	v_add_f64_e64 v[4:5], v[4:5], -v[12:13]
	v_fma_f64 v[79:80], v[20:21], v[40:41], -v[28:29]
	v_mul_f64_e32 v[20:21], v[20:21], v[42:43]
	v_add_f64_e32 v[62:63], v[128:129], v[122:123]
	v_add_f64_e64 v[10:11], v[128:129], -v[122:123]
	s_delay_alu instid0(VALU_DEP_3)
	v_fma_f64 v[81:82], v[22:23], v[40:41], v[20:21]
	global_load_b128 v[40:43], v[48:49], off offset:592
	ds_load_b128 v[20:23], v99 offset:3264
	s_wait_loadcnt_dscnt 0x0
	v_mul_f64_e32 v[28:29], v[22:23], v[42:43]
	scratch_store_b128 off, v[40:43], off offset:740 ; 16-byte Folded Spill
	v_fma_f64 v[83:84], v[20:21], v[40:41], -v[28:29]
	v_mul_f64_e32 v[20:21], v[20:21], v[42:43]
	s_delay_alu instid0(VALU_DEP_2) | instskip(NEXT) | instid1(VALU_DEP_2)
	v_add_f64_e32 v[89:90], v[79:80], v[83:84]
	v_fma_f64 v[85:86], v[22:23], v[40:41], v[20:21]
	ds_load_b128 v[20:23], v99 offset:2720
	v_add_f64_e64 v[79:80], v[83:84], -v[79:80]
	s_wait_dscnt 0x0
	v_mul_f64_e32 v[28:29], v[22:23], v[46:47]
	v_add_f64_e64 v[83:84], v[89:90], -v[87:88]
	v_add_f64_e32 v[97:98], v[81:82], v[85:86]
	v_add_f64_e64 v[81:82], v[85:86], -v[81:82]
	v_add_f64_e64 v[52:53], v[79:80], -v[66:67]
	v_fma_f64 v[42:43], v[20:21], v[44:45], -v[28:29]
	v_mul_f64_e32 v[20:21], v[20:21], v[46:47]
	s_delay_alu instid0(VALU_DEP_4)
	v_add_f64_e32 v[71:72], v[81:82], v[68:69]
	v_add_f64_e64 v[73:74], v[81:82], -v[68:69]
	s_wait_alu 0xfffe
	v_mul_f64_e32 v[150:151], s[8:9], v[52:53]
	v_add_f64_e64 v[68:69], v[68:69], -v[77:78]
	v_fma_f64 v[40:41], v[22:23], v[44:45], v[20:21]
	ds_load_b128 v[20:23], v99 offset:3536
	v_add_f64_e32 v[148:149], v[71:72], v[77:78]
	v_mul_f64_e32 v[152:153], s[8:9], v[73:74]
	s_wait_dscnt 0x0
	v_mul_f64_e32 v[28:29], v[22:23], v[56:57]
	s_delay_alu instid0(VALU_DEP_1)
	v_fma_f64 v[46:47], v[20:21], v[54:55], -v[28:29]
	v_mul_f64_e32 v[20:21], v[20:21], v[56:57]
	ds_load_b128 v[28:31], v99 offset:2992
	v_add_f64_e32 v[110:111], v[42:43], v[46:47]
	v_fma_f64 v[44:45], v[22:23], v[54:55], v[20:21]
	global_load_b128 v[54:57], v[48:49], off offset:3840
	v_add_f64_e32 v[48:49], v[50:51], v[75:76]
	v_add_f64_e64 v[75:76], v[50:51], -v[75:76]
	v_add_f64_e32 v[50:51], v[79:80], v[66:67]
	v_add_f64_e64 v[32:33], v[46:47], -v[42:43]
	v_add_f64_e64 v[42:43], v[110:111], -v[108:109]
	v_add_f64_e32 v[118:119], v[40:41], v[44:45]
	v_add_f64_e64 v[36:37], v[44:45], -v[40:41]
	v_add_f64_e64 v[85:86], v[87:88], -v[48:49]
	;; [unrolled: 1-line block ×3, first 2 shown]
	v_add_f64_e32 v[146:147], v[50:51], v[75:76]
	v_mul_f64_e32 v[50:51], s[0:1], v[83:84]
	v_add_f64_e64 v[18:19], v[32:33], -v[24:25]
	v_add_f64_e32 v[16:17], v[32:33], v[24:25]
	v_add_f64_e64 v[40:41], v[108:109], -v[106:107]
	v_add_f64_e64 v[44:45], v[116:117], -v[114:115]
	;; [unrolled: 1-line block ×3, first 2 shown]
	v_fma_f64 v[71:72], v[66:67], s[2:3], -v[150:151]
	v_mul_f64_e32 v[66:67], s[2:3], v[66:67]
	v_fma_f64 v[50:51], v[85:86], s[14:15], -v[50:51]
	s_delay_alu instid0(VALU_DEP_3) | instskip(SKIP_2) | instid1(VALU_DEP_2)
	v_fma_f64 v[73:74], v[146:147], s[16:17], v[71:72]
	v_fma_f64 v[71:72], v[68:69], s[2:3], -v[152:153]
	v_mul_f64_e32 v[68:69], s[2:3], v[68:69]
	v_fma_f64 v[71:72], v[148:149], s[16:17], v[71:72]
	s_wait_loadcnt_dscnt 0x0
	v_mul_f64_e32 v[20:21], v[30:31], v[56:57]
	scratch_store_b128 off, v[54:57], off offset:516 ; 16-byte Folded Spill
	v_fma_f64 v[22:23], v[28:29], v[54:55], -v[20:21]
	v_mul_f64_e32 v[20:21], v[28:29], v[56:57]
	s_delay_alu instid0(VALU_DEP_1) | instskip(SKIP_3) | instid1(VALU_DEP_1)
	v_fma_f64 v[20:21], v[30:31], v[54:55], v[20:21]
	ds_load_b128 v[54:57], v99 offset:3808
	s_wait_dscnt 0x0
	v_mul_f64_e32 v[28:29], v[56:57], v[60:61]
	v_fma_f64 v[30:31], v[54:55], v[58:59], -v[28:29]
	v_mul_f64_e32 v[28:29], v[54:55], v[60:61]
	v_add_f64_e32 v[54:55], v[87:88], v[48:49]
	v_add_f64_e64 v[48:49], v[48:49], -v[89:90]
	v_add_f64_e64 v[87:88], v[95:96], -v[93:94]
	v_add_f64_e32 v[130:131], v[22:23], v[30:31]
	v_fma_f64 v[28:29], v[56:57], v[58:59], v[28:29]
	v_add_f64_e32 v[91:92], v[89:90], v[54:55]
	v_add_f64_e32 v[54:55], v[95:96], v[93:94]
	;; [unrolled: 1-line block ×3, first 2 shown]
	v_add_f64_e64 v[89:90], v[93:94], -v[97:98]
	v_add_f64_e64 v[95:96], v[97:98], -v[95:96]
	;; [unrolled: 1-line block ×3, first 2 shown]
	v_mul_f64_e32 v[48:49], s[22:23], v[48:49]
	v_add_f64_e64 v[106:107], v[106:107], -v[110:111]
	v_add_f64_e64 v[12:13], v[30:31], -v[22:23]
	v_add_f64_e32 v[136:137], v[130:131], v[62:63]
	v_add_f64_e64 v[8:9], v[28:29], -v[20:21]
	v_add_f64_e32 v[142:143], v[20:21], v[28:29]
	v_add_f64_e32 v[104:105], v[97:98], v[54:55]
	;; [unrolled: 1-line block ×4, first 2 shown]
	ds_load_b128 v[54:57], v99
	v_add_f64_e64 v[97:98], v[77:78], -v[81:82]
	v_mul_f64_e32 v[89:90], s[22:23], v[89:90]
	v_fma_f64 v[66:67], v[93:94], s[26:27], -v[66:67]
	v_fma_f64 v[75:76], v[85:86], s[24:25], -v[48:49]
	v_fma_f64 v[48:49], v[83:84], s[0:1], v[48:49]
	v_mul_f64_e32 v[52:53], s[0:1], v[95:96]
	v_add_f64_e64 v[110:111], v[34:35], -v[32:33]
	v_add_f64_e32 v[62:63], v[140:141], v[138:139]
	v_add_f64_e64 v[14:15], v[130:131], -v[128:129]
	v_add_f64_e64 v[30:31], v[12:13], -v[4:5]
	;; [unrolled: 1-line block ×3, first 2 shown]
	v_add_f64_e32 v[28:29], v[12:13], v[4:5]
	v_add_f64_e64 v[4:5], v[4:5], -v[0:1]
	v_add_f64_e64 v[12:13], v[0:1], -v[12:13]
	;; [unrolled: 1-line block ×3, first 2 shown]
	v_add_f64_e32 v[120:121], v[118:119], v[58:59]
	ds_load_b128 v[58:61], v99 offset:272
	s_wait_dscnt 0x1
	v_add_f64_e32 v[54:55], v[54:55], v[91:92]
	v_add_f64_e32 v[56:57], v[56:57], v[104:105]
	v_fma_f64 v[68:69], v[97:98], s[26:27], -v[68:69]
	v_fma_f64 v[77:78], v[87:88], s[24:25], -v[89:90]
	v_fma_f64 v[66:67], v[146:147], s[16:17], v[66:67]
	v_fma_f64 v[83:84], v[95:96], s[0:1], v[89:90]
	v_fma_f64 v[52:53], v[87:88], s[14:15], -v[52:53]
	v_mul_f64_e32 v[95:96], s[8:9], v[18:19]
	v_mul_f64_e32 v[18:19], s[0:1], v[46:47]
	v_add_f64_e32 v[144:145], v[142:143], v[62:63]
	ds_load_b128 v[62:65], v99 offset:544
	v_mul_f64_e32 v[30:31], s[8:9], v[30:31]
	v_add_f64_e32 v[28:29], v[28:29], v[0:1]
	v_mul_f64_e32 v[0:1], s[2:3], v[4:5]
	s_wait_dscnt 0x1
	v_add_f64_e32 v[58:59], v[58:59], v[112:113]
	s_wait_dscnt 0x0
	v_add_f64_e32 v[62:63], v[62:63], v[136:137]
	v_add_f64_e32 v[60:61], v[60:61], v[120:121]
	v_fma_f64 v[91:92], v[91:92], s[18:19], v[54:55]
	v_fma_f64 v[104:105], v[104:105], s[18:19], v[56:57]
	v_fma_f64 v[68:69], v[148:149], s[16:17], v[68:69]
	v_fma_f64 v[18:19], v[44:45], s[14:15], -v[18:19]
	v_add_f64_e32 v[64:65], v[64:65], v[144:145]
	v_fma_f64 v[0:1], v[12:13], s[26:27], -v[0:1]
	v_add_f64_e32 v[79:80], v[75:76], v[91:92]
	v_add_f64_e32 v[81:82], v[77:78], v[104:105]
	;; [unrolled: 1-line block ×6, first 2 shown]
	v_mul_f64_e32 v[16:17], s[0:1], v[42:43]
	v_add_f64_e32 v[156:157], v[52:53], v[104:105]
	v_fma_f64 v[104:105], v[120:121], s[18:19], v[60:61]
	v_add_f64_e32 v[75:76], v[68:69], v[79:80]
	v_add_f64_e64 v[77:78], v[81:82], -v[66:67]
	v_add_f64_e64 v[79:80], v[79:80], -v[68:69]
	v_add_f64_e32 v[81:82], v[66:67], v[81:82]
	v_fma_f64 v[66:67], v[93:94], s[20:21], v[150:151]
	v_fma_f64 v[68:69], v[97:98], s[20:21], v[152:153]
	v_fma_f64 v[16:17], v[40:41], s[14:15], -v[16:17]
	v_fma_f64 v[97:98], v[112:113], s[18:19], v[58:59]
	v_add_f64_e32 v[112:113], v[18:19], v[104:105]
	v_add_f64_e64 v[50:51], v[154:155], -v[71:72]
	v_add_f64_e32 v[52:53], v[73:74], v[156:157]
	v_add_f64_e32 v[71:72], v[71:72], v[154:155]
	v_add_f64_e64 v[73:74], v[156:157], -v[73:74]
	v_fma_f64 v[66:67], v[146:147], s[16:17], v[66:67]
	v_fma_f64 v[68:69], v[148:149], s[16:17], v[68:69]
	v_add_f64_e32 v[108:109], v[16:17], v[97:98]
	s_delay_alu instid0(VALU_DEP_3) | instskip(NEXT) | instid1(VALU_DEP_3)
	v_add_f64_e64 v[85:86], v[89:90], -v[66:67]
	v_add_f64_e32 v[83:84], v[68:69], v[48:49]
	v_add_f64_e64 v[87:88], v[48:49], -v[68:69]
	v_add_f64_e32 v[89:90], v[66:67], v[89:90]
	v_add_f64_e64 v[48:49], v[24:25], -v[34:35]
	v_add_f64_e32 v[24:25], v[36:37], v[26:27]
	v_add_f64_e64 v[66:67], v[36:37], -v[26:27]
	v_add_f64_e64 v[68:69], v[26:27], -v[38:39]
	ds_store_b128 v99, v[54:57]
	ds_store_b128 v99, v[58:61] offset:272
	ds_store_b128 v99, v[62:65] offset:544
	;; [unrolled: 1-line block ×7, first 2 shown]
	v_mul_f64_e32 v[32:33], s[2:3], v[48:49]
	v_add_f64_e32 v[93:94], v[24:25], v[38:39]
	v_mul_f64_e32 v[66:67], s[8:9], v[66:67]
	v_fma_f64 v[24:25], v[48:49], s[2:3], -v[95:96]
	v_mul_f64_e32 v[34:35], s[2:3], v[68:69]
	v_mul_f64_e32 v[48:49], s[22:23], v[106:107]
	v_fma_f64 v[32:33], v[110:111], s[26:27], -v[32:33]
	s_delay_alu instid0(VALU_DEP_4) | instskip(SKIP_1) | instid1(VALU_DEP_4)
	v_fma_f64 v[26:27], v[91:92], s[16:17], v[24:25]
	v_fma_f64 v[24:25], v[68:69], s[2:3], -v[66:67]
	v_fma_f64 v[42:43], v[42:43], s[0:1], v[48:49]
	s_delay_alu instid0(VALU_DEP_3) | instskip(NEXT) | instid1(VALU_DEP_3)
	v_add_f64_e32 v[18:19], v[26:27], v[112:113]
	v_fma_f64 v[24:25], v[93:94], s[16:17], v[24:25]
	v_add_f64_e64 v[26:27], v[112:113], -v[26:27]
	v_add_f64_e64 v[112:113], v[38:39], -v[36:37]
	v_fma_f64 v[36:37], v[40:41], s[24:25], -v[48:49]
	v_fma_f64 v[40:41], v[91:92], s[16:17], v[32:33]
	v_add_f64_e64 v[16:17], v[108:109], -v[24:25]
	v_add_f64_e32 v[24:25], v[24:25], v[108:109]
	v_add_f64_e64 v[108:109], v[114:115], -v[118:119]
	v_fma_f64 v[34:35], v[112:113], s[26:27], -v[34:35]
	v_add_f64_e32 v[36:37], v[36:37], v[97:98]
	s_delay_alu instid0(VALU_DEP_3) | instskip(NEXT) | instid1(VALU_DEP_1)
	v_mul_f64_e32 v[68:69], s[22:23], v[108:109]
	v_fma_f64 v[38:39], v[44:45], s[24:25], -v[68:69]
	s_delay_alu instid0(VALU_DEP_4) | instskip(SKIP_2) | instid1(VALU_DEP_4)
	v_fma_f64 v[44:45], v[93:94], s[16:17], v[34:35]
	v_fma_f64 v[46:47], v[46:47], s[0:1], v[68:69]
	v_mul_f64_e32 v[68:69], s[0:1], v[14:15]
	v_add_f64_e32 v[38:39], v[38:39], v[104:105]
	s_delay_alu instid0(VALU_DEP_4)
	v_add_f64_e32 v[32:33], v[44:45], v[36:37]
	v_add_f64_e64 v[36:37], v[36:37], -v[44:45]
	v_fma_f64 v[44:45], v[112:113], s[20:21], v[66:67]
	v_add_f64_e32 v[66:67], v[42:43], v[97:98]
	v_add_f64_e32 v[46:47], v[46:47], v[104:105]
	v_fma_f64 v[68:69], v[10:11], s[14:15], -v[68:69]
	v_fma_f64 v[97:98], v[4:5], s[2:3], -v[30:31]
	v_add_f64_e64 v[34:35], v[38:39], -v[40:41]
	v_add_f64_e32 v[38:39], v[40:41], v[38:39]
	v_fma_f64 v[40:41], v[110:111], s[20:21], v[95:96]
	v_fma_f64 v[44:45], v[93:94], s[16:17], v[44:45]
	;; [unrolled: 1-line block ×6, first 2 shown]
	v_add_f64_e32 v[40:41], v[44:45], v[66:67]
	v_add_f64_e64 v[44:45], v[66:67], -v[44:45]
	v_add_f64_e64 v[66:67], v[8:9], -v[6:7]
	v_mul_f64_e32 v[91:92], s[0:1], v[22:23]
	v_add_f64_e32 v[68:69], v[68:69], v[93:94]
	v_add_f64_e64 v[42:43], v[46:47], -v[48:49]
	v_add_f64_e32 v[46:47], v[48:49], v[46:47]
	v_add_f64_e32 v[48:49], v[8:9], v[6:7]
	v_add_f64_e64 v[6:7], v[6:7], -v[2:3]
	v_mul_f64_e32 v[66:67], s[8:9], v[66:67]
	v_fma_f64 v[91:92], v[20:21], s[14:15], -v[91:92]
	v_add_f64_e64 v[8:9], v[2:3], -v[8:9]
	v_add_f64_e32 v[48:49], v[48:49], v[2:3]
	v_mul_f64_e32 v[2:3], s[2:3], v[6:7]
	v_fma_f64 v[104:105], v[6:7], s[2:3], -v[66:67]
	v_add_f64_e32 v[91:92], v[91:92], v[95:96]
	s_delay_alu instid0(VALU_DEP_3) | instskip(NEXT) | instid1(VALU_DEP_3)
	v_fma_f64 v[2:3], v[8:9], s[26:27], -v[2:3]
	v_fma_f64 v[104:105], v[48:49], s[16:17], v[104:105]
	s_delay_alu instid0(VALU_DEP_3)
	v_add_f64_e32 v[246:247], v[97:98], v[91:92]
	v_add_f64_e64 v[242:243], v[91:92], -v[97:98]
	v_add_f64_e64 v[91:92], v[138:139], -v[142:143]
	v_fma_f64 v[8:9], v[8:9], s[20:21], v[66:67]
	v_add_f64_e64 v[244:245], v[68:69], -v[104:105]
	v_add_f64_e32 v[240:241], v[104:105], v[68:69]
	v_add_f64_e64 v[68:69], v[122:123], -v[130:131]
	v_mul_f64_e32 v[6:7], s[22:23], v[91:92]
	v_fma_f64 v[91:92], v[48:49], s[16:17], v[2:3]
	v_fma_f64 v[8:9], v[48:49], s[16:17], v[8:9]
	s_delay_alu instid0(VALU_DEP_4) | instskip(NEXT) | instid1(VALU_DEP_4)
	v_mul_f64_e32 v[4:5], s[22:23], v[68:69]
	v_fma_f64 v[20:21], v[20:21], s[24:25], -v[6:7]
	v_fma_f64 v[68:69], v[28:29], s[16:17], v[0:1]
	v_fma_f64 v[6:7], v[22:23], s[0:1], v[6:7]
	s_delay_alu instid0(VALU_DEP_4) | instskip(SKIP_2) | instid1(VALU_DEP_4)
	v_fma_f64 v[10:11], v[10:11], s[24:25], -v[4:5]
	v_fma_f64 v[4:5], v[14:15], s[0:1], v[4:5]
	v_add_f64_e32 v[20:21], v[20:21], v[95:96]
	v_add_f64_e32 v[14:15], v[6:7], v[95:96]
	s_add_nc_u64 s[0:1], s[12:13], 0x1650
	s_delay_alu instid0(VALU_DEP_4) | instskip(NEXT) | instid1(VALU_DEP_3)
	v_add_f64_e32 v[10:11], v[10:11], v[93:94]
	v_add_f64_e64 v[2:3], v[20:21], -v[68:69]
	v_add_f64_e32 v[250:251], v[68:69], v[20:21]
	s_delay_alu instid0(VALU_DEP_3) | instskip(SKIP_3) | instid1(VALU_DEP_2)
	v_add_f64_e32 v[0:1], v[91:92], v[10:11]
	v_add_f64_e64 v[248:249], v[10:11], -v[91:92]
	v_fma_f64 v[10:11], v[12:13], s[20:21], v[30:31]
	v_add_f64_e32 v[12:13], v[4:5], v[93:94]
	v_fma_f64 v[10:11], v[28:29], s[16:17], v[10:11]
	s_delay_alu instid0(VALU_DEP_2) | instskip(SKIP_1) | instid1(VALU_DEP_3)
	v_add_f64_e32 v[4:5], v[8:9], v[12:13]
	v_add_f64_e64 v[252:253], v[12:13], -v[8:9]
	v_add_f64_e64 v[6:7], v[14:15], -v[10:11]
	v_add_f64_e32 v[254:255], v[10:11], v[14:15]
	ds_store_b128 v213, v[40:43] offset:1088
	ds_store_b128 v99, v[83:86] offset:816
	;; [unrolled: 1-line block ×13, first 2 shown]
	global_wb scope:SCOPE_SE
	s_wait_storecnt_dscnt 0x0
	s_barrier_signal -1
	s_barrier_wait -1
	global_inv scope:SCOPE_SE
	scratch_load_b64 v[0:1], off, off       ; 8-byte Folded Reload
	ds_load_b128 v[4:7], v99
	ds_load_b128 v[16:19], v99 offset:672
	ds_load_b128 v[28:31], v99 offset:1344
	;; [unrolled: 1-line block ×15, first 2 shown]
	global_load_b128 v[71:74], v70, s[0:1] offset:3696
	s_wait_loadcnt 0x1
	global_load_b128 v[0:3], v[0:1], off offset:5712
	s_wait_loadcnt_dscnt 0xf
	v_mul_f64_e32 v[8:9], v[6:7], v[2:3]
	v_mul_f64_e32 v[10:11], v[4:5], v[2:3]
	s_delay_alu instid0(VALU_DEP_2) | instskip(NEXT) | instid1(VALU_DEP_2)
	v_fma_f64 v[2:3], v[4:5], v[0:1], -v[8:9]
	v_fma_f64 v[4:5], v[6:7], v[0:1], v[10:11]
	global_load_b128 v[6:9], v70, s[0:1] offset:336
	ds_load_b128 v[10:13], v99 offset:336
	s_wait_loadcnt_dscnt 0x0
	v_mul_f64_e32 v[0:1], v[12:13], v[8:9]
	v_mul_f64_e32 v[14:15], v[10:11], v[8:9]
	s_delay_alu instid0(VALU_DEP_2) | instskip(NEXT) | instid1(VALU_DEP_2)
	v_fma_f64 v[8:9], v[10:11], v[6:7], -v[0:1]
	v_fma_f64 v[10:11], v[12:13], v[6:7], v[14:15]
	global_load_b128 v[12:15], v70, s[0:1] offset:672
	s_wait_loadcnt 0x0
	v_mul_f64_e32 v[0:1], v[18:19], v[14:15]
	v_mul_f64_e32 v[6:7], v[16:17], v[14:15]
	s_delay_alu instid0(VALU_DEP_2) | instskip(NEXT) | instid1(VALU_DEP_2)
	v_fma_f64 v[14:15], v[16:17], v[12:13], -v[0:1]
	v_fma_f64 v[16:17], v[18:19], v[12:13], v[6:7]
	global_load_b128 v[18:21], v70, s[0:1] offset:1008
	s_wait_loadcnt 0x0
	;; [unrolled: 7-line block ×9, first 2 shown]
	v_mul_f64_e32 v[0:1], v[66:67], v[62:63]
	v_mul_f64_e32 v[6:7], v[64:65], v[62:63]
	s_delay_alu instid0(VALU_DEP_2) | instskip(NEXT) | instid1(VALU_DEP_2)
	v_fma_f64 v[62:63], v[64:65], v[60:61], -v[0:1]
	v_fma_f64 v[64:65], v[66:67], v[60:61], v[6:7]
	v_mul_f64_e32 v[0:1], v[77:78], v[73:74]
	v_mul_f64_e32 v[6:7], v[75:76], v[73:74]
	s_delay_alu instid0(VALU_DEP_2) | instskip(NEXT) | instid1(VALU_DEP_2)
	v_fma_f64 v[73:74], v[75:76], v[71:72], -v[0:1]
	v_fma_f64 v[75:76], v[77:78], v[71:72], v[6:7]
	global_load_b128 v[77:80], v70, s[0:1] offset:4032
	s_wait_loadcnt 0x0
	v_mul_f64_e32 v[0:1], v[83:84], v[79:80]
	v_mul_f64_e32 v[6:7], v[81:82], v[79:80]
	s_delay_alu instid0(VALU_DEP_2) | instskip(NEXT) | instid1(VALU_DEP_2)
	v_fma_f64 v[79:80], v[81:82], v[77:78], -v[0:1]
	v_fma_f64 v[81:82], v[83:84], v[77:78], v[6:7]
	global_load_b128 v[83:86], v70, s[0:1] offset:4368
	s_wait_loadcnt 0x0
	;; [unrolled: 7-line block ×5, first 2 shown]
	v_mul_f64_e32 v[0:1], v[110:111], v[97:98]
	v_mul_f64_e32 v[6:7], v[108:109], v[97:98]
	s_delay_alu instid0(VALU_DEP_2) | instskip(NEXT) | instid1(VALU_DEP_2)
	v_fma_f64 v[108:109], v[108:109], v[95:96], -v[0:1]
	v_fma_f64 v[110:111], v[110:111], v[95:96], v[6:7]
	ds_store_b128 v99, v[2:5]
	ds_store_b128 v99, v[8:11] offset:336
	ds_store_b128 v99, v[14:17] offset:672
	;; [unrolled: 1-line block ×16, first 2 shown]
	s_and_saveexec_b32 s2, vcc_lo
	s_cbranch_execz .LBB0_9
; %bb.8:
	s_wait_alu 0xfffe
	v_add_co_u32 v12, s0, s0, v70
	s_wait_alu 0xf1ff
	v_add_co_ci_u32_e64 v13, null, s1, 0, s0
	s_clause 0x7
	global_load_b128 v[0:3], v[12:13], off offset:272
	global_load_b128 v[4:7], v[12:13], off offset:608
	;; [unrolled: 1-line block ×8, first 2 shown]
	ds_load_b128 v[34:37], v99 offset:272
	ds_load_b128 v[38:41], v99 offset:608
	global_load_b128 v[42:45], v[12:13], off offset:2960
	ds_load_b128 v[46:49], v99 offset:944
	ds_load_b128 v[70:73], v99 offset:5312
	;; [unrolled: 1-line block ×3, first 2 shown]
	s_wait_loadcnt_dscnt 0x804
	v_mul_f64_e32 v[50:51], v[36:37], v[2:3]
	v_mul_f64_e32 v[2:3], v[34:35], v[2:3]
	s_wait_loadcnt_dscnt 0x703
	v_mul_f64_e32 v[52:53], v[40:41], v[6:7]
	v_mul_f64_e32 v[6:7], v[38:39], v[6:7]
	s_delay_alu instid0(VALU_DEP_4) | instskip(NEXT) | instid1(VALU_DEP_4)
	v_fma_f64 v[34:35], v[34:35], v[0:1], -v[50:51]
	v_fma_f64 v[36:37], v[36:37], v[0:1], v[2:3]
	ds_load_b128 v[0:3], v99 offset:1280
	s_wait_loadcnt_dscnt 0x603
	v_mul_f64_e32 v[54:55], v[48:49], v[10:11]
	v_mul_f64_e32 v[10:11], v[46:47], v[10:11]
	v_fma_f64 v[38:39], v[38:39], v[4:5], -v[52:53]
	v_fma_f64 v[40:41], v[40:41], v[4:5], v[6:7]
	global_load_b128 v[4:7], v[12:13], off offset:3296
	ds_load_b128 v[50:53], v99 offset:1616
	v_fma_f64 v[46:47], v[46:47], v[8:9], -v[54:55]
	v_fma_f64 v[48:49], v[48:49], v[8:9], v[10:11]
	s_wait_loadcnt_dscnt 0x601
	v_mul_f64_e32 v[8:9], v[2:3], v[16:17]
	v_mul_f64_e32 v[10:11], v[0:1], v[16:17]
	s_delay_alu instid0(VALU_DEP_2) | instskip(NEXT) | instid1(VALU_DEP_2)
	v_fma_f64 v[0:1], v[0:1], v[14:15], -v[8:9]
	v_fma_f64 v[2:3], v[2:3], v[14:15], v[10:11]
	ds_load_b128 v[8:11], v99 offset:1952
	s_wait_loadcnt_dscnt 0x501
	v_mul_f64_e32 v[54:55], v[52:53], v[20:21]
	global_load_b128 v[14:17], v[12:13], off offset:3632
	v_mul_f64_e32 v[20:21], v[50:51], v[20:21]
	v_fma_f64 v[50:51], v[50:51], v[18:19], -v[54:55]
	s_wait_loadcnt_dscnt 0x500
	v_mul_f64_e32 v[54:55], v[10:11], v[24:25]
	v_mul_f64_e32 v[24:25], v[8:9], v[24:25]
	s_delay_alu instid0(VALU_DEP_4)
	v_fma_f64 v[52:53], v[52:53], v[18:19], v[20:21]
	ds_load_b128 v[18:21], v99 offset:2288
	v_fma_f64 v[8:9], v[8:9], v[22:23], -v[54:55]
	v_fma_f64 v[10:11], v[10:11], v[22:23], v[24:25]
	global_load_b128 v[22:25], v[12:13], off offset:3968
	s_wait_loadcnt_dscnt 0x500
	v_mul_f64_e32 v[54:55], v[20:21], v[28:29]
	v_mul_f64_e32 v[28:29], v[18:19], v[28:29]
	s_delay_alu instid0(VALU_DEP_2) | instskip(NEXT) | instid1(VALU_DEP_2)
	v_fma_f64 v[18:19], v[18:19], v[26:27], -v[54:55]
	v_fma_f64 v[20:21], v[20:21], v[26:27], v[28:29]
	ds_load_b128 v[26:29], v99 offset:2624
	s_wait_loadcnt_dscnt 0x400
	v_mul_f64_e32 v[54:55], v[28:29], v[32:33]
	v_mul_f64_e32 v[32:33], v[26:27], v[32:33]
	s_delay_alu instid0(VALU_DEP_2) | instskip(NEXT) | instid1(VALU_DEP_2)
	v_fma_f64 v[26:27], v[26:27], v[30:31], -v[54:55]
	v_fma_f64 v[28:29], v[28:29], v[30:31], v[32:33]
	ds_load_b128 v[30:33], v99 offset:2960
	;; [unrolled: 7-line block ×5, first 2 shown]
	s_wait_loadcnt_dscnt 0x0
	v_mul_f64_e32 v[54:55], v[16:17], v[24:25]
	v_mul_f64_e32 v[24:25], v[14:15], v[24:25]
	s_delay_alu instid0(VALU_DEP_2) | instskip(NEXT) | instid1(VALU_DEP_2)
	v_fma_f64 v[14:15], v[14:15], v[22:23], -v[54:55]
	v_fma_f64 v[16:17], v[16:17], v[22:23], v[24:25]
	global_load_b128 v[22:25], v[12:13], off offset:4304
	ds_load_b128 v[54:57], v99 offset:4304
	s_wait_loadcnt_dscnt 0x0
	v_mul_f64_e32 v[58:59], v[56:57], v[24:25]
	v_mul_f64_e32 v[24:25], v[54:55], v[24:25]
	s_delay_alu instid0(VALU_DEP_2) | instskip(NEXT) | instid1(VALU_DEP_2)
	v_fma_f64 v[54:55], v[54:55], v[22:23], -v[58:59]
	v_fma_f64 v[56:57], v[56:57], v[22:23], v[24:25]
	global_load_b128 v[22:25], v[12:13], off offset:4640
	ds_load_b128 v[58:61], v99 offset:4640
	;; [unrolled: 8-line block ×3, first 2 shown]
	s_wait_loadcnt_dscnt 0x0
	v_mul_f64_e32 v[66:67], v[64:65], v[24:25]
	v_mul_f64_e32 v[24:25], v[62:63], v[24:25]
	s_delay_alu instid0(VALU_DEP_2) | instskip(NEXT) | instid1(VALU_DEP_2)
	v_fma_f64 v[62:63], v[62:63], v[22:23], -v[66:67]
	v_fma_f64 v[64:65], v[64:65], v[22:23], v[24:25]
	global_load_b128 v[22:25], v[12:13], off offset:5312
	s_wait_loadcnt 0x0
	v_mul_f64_e32 v[66:67], v[72:73], v[24:25]
	v_mul_f64_e32 v[24:25], v[70:71], v[24:25]
	s_delay_alu instid0(VALU_DEP_2) | instskip(NEXT) | instid1(VALU_DEP_2)
	v_fma_f64 v[70:71], v[70:71], v[22:23], -v[66:67]
	v_fma_f64 v[72:73], v[72:73], v[22:23], v[24:25]
	global_load_b128 v[22:25], v[12:13], off offset:5648
	s_wait_loadcnt 0x0
	v_mul_f64_e32 v[12:13], v[76:77], v[24:25]
	v_mul_f64_e32 v[24:25], v[74:75], v[24:25]
	s_delay_alu instid0(VALU_DEP_2) | instskip(NEXT) | instid1(VALU_DEP_2)
	v_fma_f64 v[74:75], v[74:75], v[22:23], -v[12:13]
	v_fma_f64 v[76:77], v[76:77], v[22:23], v[24:25]
	ds_store_b128 v99, v[34:37] offset:272
	ds_store_b128 v99, v[38:41] offset:608
	;; [unrolled: 1-line block ×17, first 2 shown]
.LBB0_9:
	s_wait_alu 0xfffe
	s_or_b32 exec_lo, exec_lo, s2
	global_wb scope:SCOPE_SE
	s_wait_dscnt 0x0
	s_barrier_signal -1
	s_barrier_wait -1
	global_inv scope:SCOPE_SE
	ds_load_b128 v[0:3], v99
	ds_load_b128 v[4:7], v99 offset:336
	ds_load_b128 v[8:11], v99 offset:672
	;; [unrolled: 1-line block ×16, first 2 shown]
	s_and_saveexec_b32 s0, vcc_lo
	s_cbranch_execz .LBB0_11
; %bb.10:
	v_lshl_add_u32 v68, v216, 4, v217
	ds_load_b128 v[240:243], v68 offset:608
	ds_load_b128 v[248:251], v68 offset:944
	;; [unrolled: 1-line block ×5, first 2 shown]
	s_wait_dscnt 0x1
	scratch_store_b128 off, v[69:72], off offset:60 ; 16-byte Folded Spill
	ds_load_b128 v[69:72], v68 offset:1952
	s_wait_dscnt 0x0
	scratch_store_b128 off, v[69:72], off offset:92 ; 16-byte Folded Spill
	ds_load_b128 v[69:72], v68 offset:2288
	;; [unrolled: 3-line block ×12, first 2 shown]
	s_wait_dscnt 0x0
	scratch_store_b128 off, v[68:71], off offset:12 ; 16-byte Folded Spill
.LBB0_11:
	s_wait_alu 0xfffe
	s_or_b32 exec_lo, exec_lo, s0
	s_wait_dscnt 0xf
	v_add_f64_e32 v[68:69], v[0:1], v[4:5]
	v_add_f64_e32 v[70:71], v[2:3], v[6:7]
	s_wait_dscnt 0x7
	v_add_f64_e32 v[73:74], v[66:67], v[62:63]
	s_wait_dscnt 0x4
	v_add_f64_e32 v[89:90], v[34:35], v[42:43]
	v_add_f64_e64 v[104:105], v[34:35], -v[42:43]
	s_wait_dscnt 0x3
	v_add_f64_e32 v[152:153], v[26:27], v[38:39]
	v_add_f64_e64 v[154:155], v[26:27], -v[38:39]
	;; [unrolled: 3-line block ×3, first 2 shown]
	s_mov_b32 s28, 0x7c9e640b
	s_mov_b32 s29, 0xbfeca52d
	s_wait_dscnt 0x1
	v_add_f64_e32 v[164:165], v[10:11], v[22:23]
	v_add_f64_e64 v[166:167], v[10:11], -v[22:23]
	s_mov_b32 s22, 0x5d8e7cdc
	s_mov_b32 s54, 0x2a9d6da3
	;; [unrolled: 1-line block ×25, first 2 shown]
	v_add_f64_e32 v[68:69], v[68:69], v[8:9]
	v_add_f64_e32 v[70:71], v[70:71], v[10:11]
	s_mov_b32 s13, 0xbfd183b1
	s_mov_b32 s3, 0xbfeb34fa
	;; [unrolled: 1-line block ×6, first 2 shown]
	s_wait_alu 0xfffe
	s_mov_b32 s50, s28
	s_mov_b32 s34, s40
	;; [unrolled: 1-line block ×13, first 2 shown]
	global_wb scope:SCOPE_SE
	s_wait_storecnt_dscnt 0x0
	s_barrier_signal -1
	s_barrier_wait -1
	global_inv scope:SCOPE_SE
	v_add_f64_e32 v[68:69], v[68:69], v[16:17]
	v_add_f64_e32 v[70:71], v[70:71], v[18:19]
	s_delay_alu instid0(VALU_DEP_2) | instskip(NEXT) | instid1(VALU_DEP_2)
	v_add_f64_e32 v[68:69], v[68:69], v[24:25]
	v_add_f64_e32 v[70:71], v[70:71], v[26:27]
	s_delay_alu instid0(VALU_DEP_2) | instskip(NEXT) | instid1(VALU_DEP_2)
	v_add_f64_e32 v[68:69], v[68:69], v[32:33]
	v_add_f64_e32 v[70:71], v[70:71], v[34:35]
	;; [unrolled: 1-line block ×3, first 2 shown]
	s_delay_alu instid0(VALU_DEP_3) | instskip(NEXT) | instid1(VALU_DEP_3)
	v_add_f64_e32 v[68:69], v[68:69], v[44:45]
	v_add_f64_e32 v[70:71], v[70:71], v[46:47]
	s_delay_alu instid0(VALU_DEP_2) | instskip(NEXT) | instid1(VALU_DEP_2)
	v_add_f64_e32 v[68:69], v[68:69], v[52:53]
	v_add_f64_e32 v[70:71], v[70:71], v[54:55]
	s_delay_alu instid0(VALU_DEP_2) | instskip(NEXT) | instid1(VALU_DEP_2)
	v_add_f64_e32 v[68:69], v[68:69], v[64:65]
	v_add_f64_e32 v[75:76], v[70:71], v[66:67]
	;; [unrolled: 1-line block ×3, first 2 shown]
	v_add_f64_e64 v[64:65], v[64:65], -v[60:61]
	v_add_f64_e64 v[66:67], v[66:67], -v[62:63]
	v_add_f64_e32 v[68:69], v[68:69], v[60:61]
	v_add_f64_e32 v[77:78], v[75:76], v[62:63]
	v_add_f64_e32 v[60:61], v[52:53], v[56:57]
	v_add_f64_e64 v[52:53], v[52:53], -v[56:57]
	v_add_f64_e32 v[62:63], v[54:55], v[58:59]
	v_add_f64_e64 v[75:76], v[54:55], -v[58:59]
	v_add_f64_e32 v[54:55], v[44:45], v[48:49]
	v_add_f64_e64 v[44:45], v[44:45], -v[48:49]
	s_wait_alu 0xfffe
	v_mul_f64_e32 v[190:191], s[44:45], v[66:67]
	v_add_f64_e32 v[56:57], v[68:69], v[56:57]
	v_add_f64_e32 v[68:69], v[77:78], v[58:59]
	;; [unrolled: 1-line block ×3, first 2 shown]
	v_add_f64_e64 v[77:78], v[46:47], -v[50:51]
	v_add_f64_e32 v[46:47], v[32:33], v[40:41]
	v_add_f64_e64 v[32:33], v[32:33], -v[40:41]
	v_mul_f64_e32 v[138:139], s[2:3], v[62:63]
	v_mul_f64_e32 v[186:187], s[50:51], v[75:76]
	;; [unrolled: 1-line block ×3, first 2 shown]
	v_add_f64_e32 v[48:49], v[56:57], v[48:49]
	v_add_f64_e32 v[50:51], v[68:69], v[50:51]
	v_mul_f64_e32 v[184:185], s[12:13], v[58:59]
	v_mul_f64_e32 v[182:183], s[46:47], v[77:78]
	s_delay_alu instid0(VALU_DEP_4) | instskip(NEXT) | instid1(VALU_DEP_4)
	v_add_f64_e32 v[48:49], v[48:49], v[40:41]
	v_add_f64_e32 v[42:43], v[50:51], v[42:43]
	v_add_f64_e64 v[40:41], v[24:25], -v[36:37]
	s_delay_alu instid0(VALU_DEP_3) | instskip(NEXT) | instid1(VALU_DEP_3)
	v_add_f64_e32 v[24:25], v[48:49], v[36:37]
	v_add_f64_e32 v[26:27], v[42:43], v[38:39]
	v_add_f64_e32 v[36:37], v[16:17], v[28:29]
	v_add_f64_e64 v[38:39], v[16:17], -v[28:29]
	v_add_f64_e32 v[42:43], v[8:9], v[20:21]
	v_add_f64_e64 v[48:49], v[8:9], -v[20:21]
	v_add_f64_e32 v[16:17], v[24:25], v[28:29]
	v_add_f64_e32 v[18:19], v[26:27], v[30:31]
	s_delay_alu instid0(VALU_DEP_2) | instskip(SKIP_1) | instid1(VALU_DEP_3)
	v_add_f64_e32 v[8:9], v[16:17], v[20:21]
	v_add_f64_e64 v[16:17], v[6:7], -v[14:15]
	v_add_f64_e32 v[10:11], v[18:19], v[22:23]
	v_add_f64_e32 v[18:19], v[4:5], v[12:13]
	;; [unrolled: 1-line block ×3, first 2 shown]
	v_add_f64_e64 v[22:23], v[4:5], -v[12:13]
	v_add_f64_e32 v[4:5], v[8:9], v[12:13]
	v_mul_f64_e32 v[12:13], s[28:29], v[16:17]
	v_add_f64_e32 v[6:7], v[10:11], v[14:15]
	v_mul_f64_e32 v[8:9], s[22:23], v[16:17]
	v_mul_f64_e32 v[10:11], s[54:55], v[16:17]
	;; [unrolled: 1-line block ×13, first 2 shown]
	v_fma_f64 v[79:80], v[18:19], s[16:17], v[12:13]
	v_fma_f64 v[12:13], v[18:19], s[16:17], -v[12:13]
	v_fma_f64 v[30:31], v[18:19], s[20:21], v[8:9]
	v_fma_f64 v[8:9], v[18:19], s[20:21], -v[8:9]
	;; [unrolled: 2-line block ×8, first 2 shown]
	v_mul_f64_e32 v[18:19], s[20:21], v[20:21]
	v_mul_f64_e32 v[20:21], s[0:1], v[20:21]
	v_fma_f64 v[114:115], v[22:23], s[50:51], v[56:57]
	v_fma_f64 v[118:119], v[22:23], s[34:35], v[93:94]
	;; [unrolled: 1-line block ×12, first 2 shown]
	v_add_f64_e32 v[140:141], v[0:1], v[79:80]
	v_mul_f64_e32 v[79:80], s[54:55], v[166:167]
	v_add_f64_e32 v[144:145], v[0:1], v[12:13]
	v_add_f64_e32 v[50:51], v[0:1], v[8:9]
	;; [unrolled: 1-line block ×11, first 2 shown]
	v_mul_f64_e32 v[81:82], s[18:19], v[164:165]
	v_mul_f64_e32 v[83:84], s[28:29], v[162:163]
	;; [unrolled: 1-line block ×3, first 2 shown]
	v_fma_f64 v[108:109], v[22:23], s[44:45], v[18:19]
	v_fma_f64 v[18:19], v[22:23], s[22:23], v[18:19]
	;; [unrolled: 1-line block ×4, first 2 shown]
	v_add_f64_e32 v[22:23], v[0:1], v[30:31]
	v_add_f64_e32 v[142:143], v[2:3], v[114:115]
	;; [unrolled: 1-line block ×15, first 2 shown]
	v_mul_f64_e32 v[87:88], s[40:41], v[154:155]
	v_mul_f64_e32 v[91:92], s[14:15], v[152:153]
	;; [unrolled: 1-line block ×4, first 2 shown]
	v_fma_f64 v[0:1], v[42:43], s[18:19], v[79:80]
	v_mul_f64_e32 v[97:98], s[24:25], v[77:78]
	v_mul_f64_e32 v[106:107], s[8:9], v[58:59]
	;; [unrolled: 1-line block ×6, first 2 shown]
	v_fma_f64 v[12:13], v[36:37], s[16:17], v[83:84]
	v_add_f64_e32 v[30:31], v[2:3], v[108:109]
	v_add_f64_e32 v[56:57], v[2:3], v[18:19]
	;; [unrolled: 1-line block ×5, first 2 shown]
	v_fma_f64 v[2:3], v[48:49], s[36:37], v[81:82]
	v_mul_f64_e32 v[136:137], s[30:31], v[75:76]
	v_mul_f64_e32 v[108:109], s[26:27], v[66:67]
	;; [unrolled: 1-line block ×4, first 2 shown]
	v_add_f64_e32 v[0:1], v[0:1], v[22:23]
	v_mul_f64_e32 v[22:23], s[8:9], v[160:161]
	v_add_f64_e32 v[2:3], v[2:3], v[30:31]
	v_mul_f64_e32 v[30:31], s[2:3], v[89:90]
	s_delay_alu instid0(VALU_DEP_4) | instskip(SKIP_1) | instid1(VALU_DEP_1)
	v_add_f64_e32 v[0:1], v[12:13], v[0:1]
	v_fma_f64 v[12:13], v[38:39], s[50:51], v[85:86]
	v_add_f64_e32 v[2:3], v[12:13], v[2:3]
	v_fma_f64 v[12:13], v[34:35], s[14:15], v[87:88]
	s_delay_alu instid0(VALU_DEP_1) | instskip(SKIP_1) | instid1(VALU_DEP_1)
	v_add_f64_e32 v[0:1], v[12:13], v[0:1]
	v_fma_f64 v[12:13], v[40:41], s[34:35], v[91:92]
	v_add_f64_e32 v[2:3], v[12:13], v[2:3]
	v_fma_f64 v[12:13], v[46:47], s[12:13], v[93:94]
	s_delay_alu instid0(VALU_DEP_1) | instskip(SKIP_1) | instid1(VALU_DEP_1)
	;; [unrolled: 5-line block ×5, first 2 shown]
	v_add_f64_e32 v[0:1], v[12:13], v[0:1]
	v_fma_f64 v[12:13], v[64:65], s[48:49], v[110:111]
	v_add_f64_e32 v[2:3], v[12:13], v[2:3]
	v_fma_f64 v[12:13], v[42:43], s[14:15], v[16:17]
	v_fma_f64 v[16:17], v[42:43], s[14:15], -v[16:17]
	s_delay_alu instid0(VALU_DEP_2) | instskip(SKIP_1) | instid1(VALU_DEP_3)
	v_add_f64_e32 v[8:9], v[12:13], v[8:9]
	v_fma_f64 v[12:13], v[48:49], s[34:35], v[20:21]
	v_add_f64_e32 v[10:11], v[16:17], v[10:11]
	v_fma_f64 v[16:17], v[48:49], s[40:41], v[20:21]
	s_delay_alu instid0(VALU_DEP_3) | instskip(SKIP_1) | instid1(VALU_DEP_3)
	v_add_f64_e32 v[12:13], v[12:13], v[18:19]
	v_mul_f64_e32 v[18:19], s[24:25], v[162:163]
	v_add_f64_e32 v[16:17], v[16:17], v[68:69]
	v_mul_f64_e32 v[68:69], s[12:13], v[152:153]
	s_delay_alu instid0(VALU_DEP_3) | instskip(SKIP_1) | instid1(VALU_DEP_2)
	v_fma_f64 v[14:15], v[36:37], s[8:9], v[18:19]
	v_fma_f64 v[18:19], v[36:37], s[8:9], -v[18:19]
	v_add_f64_e32 v[8:9], v[14:15], v[8:9]
	v_fma_f64 v[14:15], v[38:39], s[42:43], v[22:23]
	s_delay_alu instid0(VALU_DEP_3) | instskip(SKIP_1) | instid1(VALU_DEP_3)
	v_add_f64_e32 v[10:11], v[18:19], v[10:11]
	v_fma_f64 v[18:19], v[38:39], s[24:25], v[22:23]
	v_add_f64_e32 v[12:13], v[14:15], v[12:13]
	v_fma_f64 v[14:15], v[34:35], s[0:1], v[24:25]
	s_delay_alu instid0(VALU_DEP_3) | instskip(SKIP_2) | instid1(VALU_DEP_4)
	v_add_f64_e32 v[16:17], v[18:19], v[16:17]
	v_fma_f64 v[18:19], v[34:35], s[0:1], -v[24:25]
	v_mul_f64_e32 v[24:25], s[8:9], v[164:165]
	v_add_f64_e32 v[8:9], v[14:15], v[8:9]
	v_fma_f64 v[14:15], v[40:41], s[48:49], v[26:27]
	s_delay_alu instid0(VALU_DEP_4) | instskip(SKIP_2) | instid1(VALU_DEP_4)
	v_add_f64_e32 v[10:11], v[18:19], v[10:11]
	v_fma_f64 v[18:19], v[40:41], s[26:27], v[26:27]
	v_mul_f64_e32 v[26:27], s[48:49], v[162:163]
	v_add_f64_e32 v[12:13], v[14:15], v[12:13]
	v_fma_f64 v[14:15], v[46:47], s[2:3], v[28:29]
	s_delay_alu instid0(VALU_DEP_4)
	v_add_f64_e32 v[16:17], v[18:19], v[16:17]
	v_fma_f64 v[18:19], v[46:47], s[2:3], -v[28:29]
	v_fma_f64 v[22:23], v[36:37], s[0:1], v[26:27]
	v_mul_f64_e32 v[28:29], s[0:1], v[160:161]
	v_fma_f64 v[26:27], v[36:37], s[0:1], -v[26:27]
	v_add_f64_e32 v[8:9], v[14:15], v[8:9]
	v_fma_f64 v[14:15], v[32:33], s[30:31], v[30:31]
	v_add_f64_e32 v[10:11], v[18:19], v[10:11]
	v_fma_f64 v[18:19], v[32:33], s[38:39], v[30:31]
	v_mul_f64_e32 v[30:31], s[46:47], v[154:155]
	s_delay_alu instid0(VALU_DEP_4) | instskip(SKIP_1) | instid1(VALU_DEP_4)
	v_add_f64_e32 v[12:13], v[14:15], v[12:13]
	v_fma_f64 v[14:15], v[54:55], s[12:13], v[182:183]
	v_add_f64_e32 v[16:17], v[18:19], v[16:17]
	v_fma_f64 v[18:19], v[54:55], s[12:13], -v[182:183]
	v_mul_f64_e32 v[182:183], s[22:23], v[77:78]
	s_delay_alu instid0(VALU_DEP_4) | instskip(SKIP_1) | instid1(VALU_DEP_4)
	v_add_f64_e32 v[8:9], v[14:15], v[8:9]
	v_fma_f64 v[14:15], v[44:45], s[52:53], v[184:185]
	v_add_f64_e32 v[10:11], v[18:19], v[10:11]
	v_fma_f64 v[18:19], v[44:45], s[46:47], v[184:185]
	v_mul_f64_e32 v[184:185], s[20:21], v[58:59]
	s_delay_alu instid0(VALU_DEP_4) | instskip(SKIP_1) | instid1(VALU_DEP_4)
	v_add_f64_e32 v[12:13], v[14:15], v[12:13]
	v_fma_f64 v[14:15], v[60:61], s[16:17], v[186:187]
	v_add_f64_e32 v[16:17], v[18:19], v[16:17]
	v_fma_f64 v[18:19], v[60:61], s[16:17], -v[186:187]
	v_mul_f64_e32 v[186:187], s[40:41], v[75:76]
	s_delay_alu instid0(VALU_DEP_4) | instskip(SKIP_1) | instid1(VALU_DEP_4)
	v_add_f64_e32 v[8:9], v[14:15], v[8:9]
	v_fma_f64 v[14:15], v[52:53], s[28:29], v[188:189]
	v_add_f64_e32 v[10:11], v[18:19], v[10:11]
	v_fma_f64 v[18:19], v[52:53], s[50:51], v[188:189]
	v_mul_f64_e32 v[188:189], s[14:15], v[62:63]
	s_delay_alu instid0(VALU_DEP_4) | instskip(SKIP_1) | instid1(VALU_DEP_4)
	v_add_f64_e32 v[14:15], v[14:15], v[12:13]
	v_fma_f64 v[12:13], v[71:72], s[20:21], v[190:191]
	v_add_f64_e32 v[16:17], v[18:19], v[16:17]
	v_fma_f64 v[18:19], v[71:72], s[20:21], -v[190:191]
	v_mul_f64_e32 v[190:191], s[30:31], v[66:67]
	s_delay_alu instid0(VALU_DEP_4) | instskip(SKIP_1) | instid1(VALU_DEP_1)
	v_add_f64_e32 v[12:13], v[12:13], v[8:9]
	v_mul_f64_e32 v[8:9], s[20:21], v[73:74]
	v_fma_f64 v[20:21], v[64:65], s[44:45], v[8:9]
	v_fma_f64 v[192:193], v[64:65], s[22:23], v[8:9]
	v_add_f64_e32 v[8:9], v[18:19], v[10:11]
	s_delay_alu instid0(VALU_DEP_3)
	v_add_f64_e32 v[10:11], v[20:21], v[16:17]
	v_mul_f64_e32 v[16:17], s[24:25], v[166:167]
	v_fma_f64 v[20:21], v[48:49], s[42:43], v[24:25]
	v_fma_f64 v[24:25], v[48:49], s[24:25], v[24:25]
	v_add_f64_e32 v[14:15], v[192:193], v[14:15]
	ds_store_b128 v212, v[4:7]
	ds_store_b128 v212, v[0:3] offset:16
	ds_store_b128 v212, v[12:15] offset:32
	v_fma_f64 v[18:19], v[42:43], s[8:9], v[16:17]
	v_add_f64_e32 v[20:21], v[20:21], v[142:143]
	v_fma_f64 v[16:17], v[42:43], s[8:9], -v[16:17]
	v_add_f64_e32 v[24:25], v[24:25], v[146:147]
	v_mul_f64_e32 v[142:143], s[18:19], v[89:90]
	v_mul_f64_e32 v[146:147], s[20:21], v[152:153]
	v_add_f64_e32 v[18:19], v[18:19], v[140:141]
	v_mul_f64_e32 v[140:141], s[36:37], v[104:105]
	v_add_f64_e32 v[16:17], v[16:17], v[144:145]
	v_mul_f64_e32 v[144:145], s[44:45], v[154:155]
	s_delay_alu instid0(VALU_DEP_4) | instskip(SKIP_1) | instid1(VALU_DEP_4)
	v_add_f64_e32 v[18:19], v[22:23], v[18:19]
	v_fma_f64 v[22:23], v[38:39], s[26:27], v[28:29]
	v_add_f64_e32 v[16:17], v[26:27], v[16:17]
	v_fma_f64 v[26:27], v[38:39], s[48:49], v[28:29]
	s_delay_alu instid0(VALU_DEP_3) | instskip(SKIP_1) | instid1(VALU_DEP_3)
	v_add_f64_e32 v[20:21], v[22:23], v[20:21]
	v_fma_f64 v[22:23], v[34:35], s[12:13], v[30:31]
	v_add_f64_e32 v[24:25], v[26:27], v[24:25]
	v_fma_f64 v[26:27], v[34:35], s[12:13], -v[30:31]
	s_delay_alu instid0(VALU_DEP_3) | instskip(SKIP_1) | instid1(VALU_DEP_3)
	v_add_f64_e32 v[18:19], v[22:23], v[18:19]
	v_fma_f64 v[22:23], v[40:41], s[52:53], v[68:69]
	v_add_f64_e32 v[16:17], v[26:27], v[16:17]
	v_fma_f64 v[26:27], v[40:41], s[46:47], v[68:69]
	v_mul_f64_e32 v[68:69], s[0:1], v[164:165]
	s_delay_alu instid0(VALU_DEP_4) | instskip(SKIP_1) | instid1(VALU_DEP_4)
	v_add_f64_e32 v[20:21], v[22:23], v[20:21]
	v_fma_f64 v[22:23], v[46:47], s[18:19], v[140:141]
	v_add_f64_e32 v[24:25], v[26:27], v[24:25]
	v_fma_f64 v[26:27], v[46:47], s[18:19], -v[140:141]
	v_mul_f64_e32 v[140:141], s[46:47], v[162:163]
	v_fma_f64 v[28:29], v[48:49], s[48:49], v[68:69]
	v_fma_f64 v[68:69], v[48:49], s[26:27], v[68:69]
	v_add_f64_e32 v[18:19], v[22:23], v[18:19]
	v_fma_f64 v[22:23], v[32:33], s[54:55], v[142:143]
	v_add_f64_e32 v[16:17], v[26:27], v[16:17]
	v_fma_f64 v[26:27], v[32:33], s[36:37], v[142:143]
	v_fma_f64 v[30:31], v[36:37], s[12:13], v[140:141]
	v_mul_f64_e32 v[142:143], s[12:13], v[160:161]
	v_add_f64_e32 v[28:29], v[28:29], v[150:151]
	v_fma_f64 v[140:141], v[36:37], s[12:13], -v[140:141]
	v_add_f64_e32 v[68:69], v[68:69], v[158:159]
	v_mul_f64_e32 v[150:151], s[16:17], v[89:90]
	v_add_f64_e32 v[20:21], v[22:23], v[20:21]
	v_fma_f64 v[22:23], v[54:55], s[20:21], v[182:183]
	v_add_f64_e32 v[24:25], v[26:27], v[24:25]
	v_fma_f64 v[26:27], v[54:55], s[20:21], -v[182:183]
	v_mul_f64_e32 v[182:183], s[30:31], v[77:78]
	s_delay_alu instid0(VALU_DEP_4) | instskip(SKIP_1) | instid1(VALU_DEP_4)
	v_add_f64_e32 v[18:19], v[22:23], v[18:19]
	v_fma_f64 v[22:23], v[44:45], s[44:45], v[184:185]
	v_add_f64_e32 v[16:17], v[26:27], v[16:17]
	v_fma_f64 v[26:27], v[44:45], s[22:23], v[184:185]
	v_mul_f64_e32 v[184:185], s[2:3], v[58:59]
	s_delay_alu instid0(VALU_DEP_4) | instskip(SKIP_1) | instid1(VALU_DEP_4)
	v_add_f64_e32 v[20:21], v[22:23], v[20:21]
	v_fma_f64 v[22:23], v[60:61], s[14:15], v[186:187]
	v_add_f64_e32 v[24:25], v[26:27], v[24:25]
	v_fma_f64 v[26:27], v[60:61], s[14:15], -v[186:187]
	v_mul_f64_e32 v[186:187], s[42:43], v[75:76]
	s_delay_alu instid0(VALU_DEP_4) | instskip(SKIP_1) | instid1(VALU_DEP_4)
	v_add_f64_e32 v[18:19], v[22:23], v[18:19]
	v_fma_f64 v[22:23], v[52:53], s[34:35], v[188:189]
	v_add_f64_e32 v[16:17], v[26:27], v[16:17]
	v_fma_f64 v[26:27], v[52:53], s[40:41], v[188:189]
	v_mul_f64_e32 v[188:189], s[8:9], v[62:63]
	s_delay_alu instid0(VALU_DEP_4) | instskip(SKIP_1) | instid1(VALU_DEP_4)
	v_add_f64_e32 v[22:23], v[22:23], v[20:21]
	v_fma_f64 v[20:21], v[71:72], s[2:3], v[190:191]
	v_add_f64_e32 v[24:25], v[26:27], v[24:25]
	v_fma_f64 v[26:27], v[71:72], s[2:3], -v[190:191]
	v_mul_f64_e32 v[190:191], s[36:37], v[66:67]
	s_delay_alu instid0(VALU_DEP_4) | instskip(SKIP_1) | instid1(VALU_DEP_4)
	v_add_f64_e32 v[20:21], v[20:21], v[18:19]
	v_mul_f64_e32 v[18:19], s[2:3], v[73:74]
	v_add_f64_e32 v[16:17], v[26:27], v[16:17]
	s_delay_alu instid0(VALU_DEP_2) | instskip(SKIP_1) | instid1(VALU_DEP_2)
	v_fma_f64 v[192:193], v[64:65], s[38:39], v[18:19]
	v_fma_f64 v[18:19], v[64:65], s[30:31], v[18:19]
	v_add_f64_e32 v[22:23], v[192:193], v[22:23]
	s_delay_alu instid0(VALU_DEP_2) | instskip(SKIP_1) | instid1(VALU_DEP_1)
	v_add_f64_e32 v[18:19], v[18:19], v[24:25]
	v_mul_f64_e32 v[24:25], s[26:27], v[166:167]
	v_fma_f64 v[26:27], v[42:43], s[0:1], v[24:25]
	v_fma_f64 v[24:25], v[42:43], s[0:1], -v[24:25]
	s_delay_alu instid0(VALU_DEP_2) | instskip(NEXT) | instid1(VALU_DEP_2)
	v_add_f64_e32 v[26:27], v[26:27], v[148:149]
	v_add_f64_e32 v[24:25], v[24:25], v[156:157]
	v_mul_f64_e32 v[148:149], s[28:29], v[104:105]
	s_delay_alu instid0(VALU_DEP_3) | instskip(SKIP_1) | instid1(VALU_DEP_4)
	v_add_f64_e32 v[26:27], v[30:31], v[26:27]
	v_fma_f64 v[30:31], v[38:39], s[52:53], v[142:143]
	v_add_f64_e32 v[24:25], v[140:141], v[24:25]
	v_fma_f64 v[140:141], v[38:39], s[46:47], v[142:143]
	s_delay_alu instid0(VALU_DEP_3) | instskip(SKIP_1) | instid1(VALU_DEP_3)
	v_add_f64_e32 v[28:29], v[30:31], v[28:29]
	v_fma_f64 v[30:31], v[34:35], s[20:21], v[144:145]
	v_add_f64_e32 v[68:69], v[140:141], v[68:69]
	v_fma_f64 v[140:141], v[34:35], s[20:21], -v[144:145]
	v_mul_f64_e32 v[144:145], s[2:3], v[164:165]
	s_delay_alu instid0(VALU_DEP_4) | instskip(SKIP_1) | instid1(VALU_DEP_4)
	v_add_f64_e32 v[26:27], v[30:31], v[26:27]
	v_fma_f64 v[30:31], v[40:41], s[22:23], v[146:147]
	v_add_f64_e32 v[24:25], v[140:141], v[24:25]
	v_fma_f64 v[140:141], v[40:41], s[44:45], v[146:147]
	v_mul_f64_e32 v[146:147], s[36:37], v[162:163]
	v_fma_f64 v[142:143], v[48:49], s[30:31], v[144:145]
	v_fma_f64 v[144:145], v[48:49], s[38:39], v[144:145]
	v_add_f64_e32 v[28:29], v[30:31], v[28:29]
	v_fma_f64 v[30:31], v[46:47], s[16:17], v[148:149]
	v_add_f64_e32 v[68:69], v[140:141], v[68:69]
	v_fma_f64 v[140:141], v[46:47], s[16:17], -v[148:149]
	v_fma_f64 v[148:149], v[36:37], s[18:19], v[146:147]
	v_add_f64_e32 v[142:143], v[142:143], v[168:169]
	v_fma_f64 v[146:147], v[36:37], s[18:19], -v[146:147]
	v_add_f64_e32 v[144:145], v[144:145], v[172:173]
	v_add_f64_e32 v[26:27], v[30:31], v[26:27]
	v_fma_f64 v[30:31], v[32:33], s[50:51], v[150:151]
	v_add_f64_e32 v[24:25], v[140:141], v[24:25]
	v_fma_f64 v[140:141], v[32:33], s[28:29], v[150:151]
	s_delay_alu instid0(VALU_DEP_3) | instskip(SKIP_1) | instid1(VALU_DEP_3)
	v_add_f64_e32 v[28:29], v[30:31], v[28:29]
	v_fma_f64 v[30:31], v[54:55], s[2:3], v[182:183]
	v_add_f64_e32 v[68:69], v[140:141], v[68:69]
	v_fma_f64 v[140:141], v[54:55], s[2:3], -v[182:183]
	s_delay_alu instid0(VALU_DEP_3) | instskip(SKIP_1) | instid1(VALU_DEP_3)
	v_add_f64_e32 v[26:27], v[30:31], v[26:27]
	v_fma_f64 v[30:31], v[44:45], s[38:39], v[184:185]
	v_add_f64_e32 v[24:25], v[140:141], v[24:25]
	v_fma_f64 v[140:141], v[44:45], s[30:31], v[184:185]
	s_delay_alu instid0(VALU_DEP_3) | instskip(SKIP_1) | instid1(VALU_DEP_3)
	v_add_f64_e32 v[28:29], v[30:31], v[28:29]
	v_fma_f64 v[30:31], v[60:61], s[8:9], v[186:187]
	v_add_f64_e32 v[68:69], v[140:141], v[68:69]
	v_fma_f64 v[140:141], v[60:61], s[8:9], -v[186:187]
	s_delay_alu instid0(VALU_DEP_3) | instskip(SKIP_1) | instid1(VALU_DEP_3)
	;; [unrolled: 10-line block ×3, first 2 shown]
	v_add_f64_e32 v[28:29], v[28:29], v[26:27]
	v_mul_f64_e32 v[26:27], s[18:19], v[73:74]
	v_add_f64_e32 v[24:25], v[140:141], v[24:25]
	s_delay_alu instid0(VALU_DEP_2) | instskip(SKIP_1) | instid1(VALU_DEP_2)
	v_fma_f64 v[192:193], v[64:65], s[54:55], v[26:27]
	v_fma_f64 v[26:27], v[64:65], s[36:37], v[26:27]
	v_add_f64_e32 v[30:31], v[192:193], v[30:31]
	s_delay_alu instid0(VALU_DEP_2) | instskip(SKIP_1) | instid1(VALU_DEP_1)
	v_add_f64_e32 v[26:27], v[26:27], v[68:69]
	v_mul_f64_e32 v[68:69], s[38:39], v[166:167]
	v_fma_f64 v[140:141], v[42:43], s[2:3], v[68:69]
	v_fma_f64 v[68:69], v[42:43], s[2:3], -v[68:69]
	s_delay_alu instid0(VALU_DEP_2) | instskip(NEXT) | instid1(VALU_DEP_2)
	v_add_f64_e32 v[140:141], v[140:141], v[214:215]
	v_add_f64_e32 v[68:69], v[68:69], v[170:171]
	s_delay_alu instid0(VALU_DEP_2) | instskip(SKIP_1) | instid1(VALU_DEP_3)
	v_add_f64_e32 v[140:141], v[148:149], v[140:141]
	v_mul_f64_e32 v[148:149], s[18:19], v[160:161]
	v_add_f64_e32 v[68:69], v[146:147], v[68:69]
	s_delay_alu instid0(VALU_DEP_2) | instskip(SKIP_1) | instid1(VALU_DEP_2)
	v_fma_f64 v[150:151], v[38:39], s[54:55], v[148:149]
	v_fma_f64 v[146:147], v[38:39], s[36:37], v[148:149]
	v_add_f64_e32 v[142:143], v[150:151], v[142:143]
	v_mul_f64_e32 v[150:151], s[28:29], v[154:155]
	s_delay_alu instid0(VALU_DEP_3) | instskip(NEXT) | instid1(VALU_DEP_2)
	v_add_f64_e32 v[144:145], v[146:147], v[144:145]
	v_fma_f64 v[156:157], v[34:35], s[16:17], v[150:151]
	v_fma_f64 v[146:147], v[34:35], s[16:17], -v[150:151]
	s_delay_alu instid0(VALU_DEP_2) | instskip(SKIP_1) | instid1(VALU_DEP_3)
	v_add_f64_e32 v[140:141], v[156:157], v[140:141]
	v_mul_f64_e32 v[156:157], s[16:17], v[152:153]
	v_add_f64_e32 v[68:69], v[146:147], v[68:69]
	s_delay_alu instid0(VALU_DEP_2) | instskip(SKIP_2) | instid1(VALU_DEP_3)
	v_fma_f64 v[158:159], v[40:41], s[50:51], v[156:157]
	v_fma_f64 v[146:147], v[40:41], s[28:29], v[156:157]
	v_mul_f64_e32 v[156:157], s[12:13], v[164:165]
	v_add_f64_e32 v[142:143], v[158:159], v[142:143]
	v_mul_f64_e32 v[158:159], s[26:27], v[104:105]
	s_delay_alu instid0(VALU_DEP_4) | instskip(NEXT) | instid1(VALU_DEP_4)
	v_add_f64_e32 v[144:145], v[146:147], v[144:145]
	v_fma_f64 v[150:151], v[48:49], s[52:53], v[156:157]
	v_fma_f64 v[156:157], v[48:49], s[46:47], v[156:157]
	s_delay_alu instid0(VALU_DEP_4)
	v_fma_f64 v[168:169], v[46:47], s[0:1], v[158:159]
	v_fma_f64 v[146:147], v[46:47], s[0:1], -v[158:159]
	v_mul_f64_e32 v[158:159], s[22:23], v[162:163]
	v_add_f64_e32 v[150:151], v[150:151], v[176:177]
	v_add_f64_e32 v[156:157], v[156:157], v[180:181]
	;; [unrolled: 1-line block ×3, first 2 shown]
	v_mul_f64_e32 v[168:169], s[0:1], v[89:90]
	v_add_f64_e32 v[68:69], v[146:147], v[68:69]
	s_delay_alu instid0(VALU_DEP_2) | instskip(SKIP_3) | instid1(VALU_DEP_4)
	v_fma_f64 v[182:183], v[32:33], s[48:49], v[168:169]
	v_fma_f64 v[146:147], v[32:33], s[26:27], v[168:169]
	v_fma_f64 v[168:169], v[36:37], s[20:21], v[158:159]
	v_fma_f64 v[158:159], v[36:37], s[20:21], -v[158:159]
	v_add_f64_e32 v[142:143], v[182:183], v[142:143]
	v_mul_f64_e32 v[182:183], s[34:35], v[77:78]
	v_add_f64_e32 v[144:145], v[146:147], v[144:145]
	s_delay_alu instid0(VALU_DEP_2) | instskip(SKIP_1) | instid1(VALU_DEP_2)
	v_fma_f64 v[184:185], v[54:55], s[14:15], v[182:183]
	v_fma_f64 v[146:147], v[54:55], s[14:15], -v[182:183]
	v_add_f64_e32 v[140:141], v[184:185], v[140:141]
	v_mul_f64_e32 v[184:185], s[14:15], v[58:59]
	s_delay_alu instid0(VALU_DEP_3) | instskip(NEXT) | instid1(VALU_DEP_2)
	v_add_f64_e32 v[68:69], v[146:147], v[68:69]
	v_fma_f64 v[186:187], v[44:45], s[40:41], v[184:185]
	v_fma_f64 v[146:147], v[44:45], s[34:35], v[184:185]
	s_delay_alu instid0(VALU_DEP_2) | instskip(SKIP_1) | instid1(VALU_DEP_3)
	v_add_f64_e32 v[142:143], v[186:187], v[142:143]
	v_mul_f64_e32 v[186:187], s[22:23], v[75:76]
	v_add_f64_e32 v[144:145], v[146:147], v[144:145]
	s_delay_alu instid0(VALU_DEP_2) | instskip(SKIP_1) | instid1(VALU_DEP_2)
	v_fma_f64 v[188:189], v[60:61], s[20:21], v[186:187]
	v_fma_f64 v[146:147], v[60:61], s[20:21], -v[186:187]
	v_add_f64_e32 v[140:141], v[188:189], v[140:141]
	v_mul_f64_e32 v[188:189], s[20:21], v[62:63]
	s_delay_alu instid0(VALU_DEP_3) | instskip(NEXT) | instid1(VALU_DEP_2)
	v_add_f64_e32 v[68:69], v[146:147], v[68:69]
	v_fma_f64 v[190:191], v[52:53], s[44:45], v[188:189]
	v_fma_f64 v[146:147], v[52:53], s[22:23], v[188:189]
	s_delay_alu instid0(VALU_DEP_2) | instskip(SKIP_1) | instid1(VALU_DEP_3)
	v_add_f64_e32 v[142:143], v[190:191], v[142:143]
	v_mul_f64_e32 v[190:191], s[24:25], v[66:67]
	v_add_f64_e32 v[146:147], v[146:147], v[144:145]
	s_delay_alu instid0(VALU_DEP_2) | instskip(SKIP_1) | instid1(VALU_DEP_2)
	v_fma_f64 v[192:193], v[71:72], s[8:9], v[190:191]
	v_fma_f64 v[144:145], v[71:72], s[8:9], -v[190:191]
	v_add_f64_e32 v[140:141], v[192:193], v[140:141]
	v_mul_f64_e32 v[192:193], s[8:9], v[73:74]
	s_delay_alu instid0(VALU_DEP_3) | instskip(SKIP_1) | instid1(VALU_DEP_3)
	v_add_f64_e32 v[144:145], v[144:145], v[68:69]
	v_mul_f64_e32 v[68:69], s[46:47], v[166:167]
	v_fma_f64 v[148:149], v[64:65], s[24:25], v[192:193]
	v_fma_f64 v[194:195], v[64:65], s[42:43], v[192:193]
	s_delay_alu instid0(VALU_DEP_2) | instskip(NEXT) | instid1(VALU_DEP_4)
	v_add_f64_e32 v[146:147], v[148:149], v[146:147]
	v_fma_f64 v[148:149], v[42:43], s[12:13], v[68:69]
	v_fma_f64 v[68:69], v[42:43], s[12:13], -v[68:69]
	s_delay_alu instid0(VALU_DEP_4) | instskip(NEXT) | instid1(VALU_DEP_3)
	v_add_f64_e32 v[142:143], v[194:195], v[142:143]
	v_add_f64_e32 v[148:149], v[148:149], v[174:175]
	s_delay_alu instid0(VALU_DEP_3) | instskip(NEXT) | instid1(VALU_DEP_2)
	v_add_f64_e32 v[68:69], v[68:69], v[178:179]
	v_add_f64_e32 v[148:149], v[168:169], v[148:149]
	v_mul_f64_e32 v[168:169], s[20:21], v[160:161]
	s_delay_alu instid0(VALU_DEP_3) | instskip(NEXT) | instid1(VALU_DEP_2)
	v_add_f64_e32 v[68:69], v[158:159], v[68:69]
	v_fma_f64 v[170:171], v[38:39], s[44:45], v[168:169]
	v_fma_f64 v[158:159], v[38:39], s[22:23], v[168:169]
	s_delay_alu instid0(VALU_DEP_2) | instskip(SKIP_1) | instid1(VALU_DEP_3)
	v_add_f64_e32 v[150:151], v[170:171], v[150:151]
	v_mul_f64_e32 v[170:171], s[30:31], v[154:155]
	v_add_f64_e32 v[156:157], v[158:159], v[156:157]
	s_delay_alu instid0(VALU_DEP_2) | instskip(SKIP_1) | instid1(VALU_DEP_2)
	v_fma_f64 v[172:173], v[34:35], s[2:3], v[170:171]
	v_fma_f64 v[158:159], v[34:35], s[2:3], -v[170:171]
	v_add_f64_e32 v[148:149], v[172:173], v[148:149]
	v_mul_f64_e32 v[172:173], s[2:3], v[152:153]
	s_delay_alu instid0(VALU_DEP_3) | instskip(NEXT) | instid1(VALU_DEP_2)
	v_add_f64_e32 v[68:69], v[158:159], v[68:69]
	v_fma_f64 v[174:175], v[40:41], s[38:39], v[172:173]
	v_fma_f64 v[158:159], v[40:41], s[30:31], v[172:173]
	s_delay_alu instid0(VALU_DEP_2) | instskip(SKIP_1) | instid1(VALU_DEP_3)
	v_add_f64_e32 v[150:151], v[174:175], v[150:151]
	v_mul_f64_e32 v[174:175], s[34:35], v[104:105]
	v_add_f64_e32 v[156:157], v[158:159], v[156:157]
	s_delay_alu instid0(VALU_DEP_2) | instskip(SKIP_1) | instid1(VALU_DEP_2)
	v_fma_f64 v[176:177], v[46:47], s[14:15], v[174:175]
	v_fma_f64 v[158:159], v[46:47], s[14:15], -v[174:175]
	;; [unrolled: 13-line block ×5, first 2 shown]
	v_add_f64_e32 v[148:149], v[192:193], v[148:149]
	v_mul_f64_e32 v[192:193], s[16:17], v[73:74]
	s_delay_alu instid0(VALU_DEP_3) | instskip(SKIP_1) | instid1(VALU_DEP_3)
	v_add_f64_e32 v[156:157], v[156:157], v[68:69]
	v_mul_f64_e32 v[68:69], s[50:51], v[166:167]
	v_fma_f64 v[168:169], v[64:65], s[50:51], v[192:193]
	v_fma_f64 v[194:195], v[64:65], s[28:29], v[192:193]
	v_mul_f64_e32 v[192:193], s[52:53], v[66:67]
	v_mul_f64_e32 v[66:67], s[34:35], v[66:67]
	s_delay_alu instid0(VALU_DEP_4) | instskip(SKIP_4) | instid1(VALU_DEP_4)
	v_add_f64_e32 v[158:159], v[168:169], v[158:159]
	v_fma_f64 v[168:169], v[42:43], s[16:17], v[68:69]
	v_fma_f64 v[68:69], v[42:43], s[16:17], -v[68:69]
	v_add_f64_e32 v[150:151], v[194:195], v[150:151]
	v_mul_f64_e32 v[194:195], s[12:13], v[73:74]
	v_add_f64_e32 v[130:131], v[168:169], v[130:131]
	v_mul_f64_e32 v[168:169], s[16:17], v[164:165]
	v_add_f64_e32 v[68:69], v[68:69], v[122:123]
	v_mul_f64_e32 v[164:165], s[20:21], v[164:165]
	s_delay_alu instid0(VALU_DEP_3) | instskip(SKIP_2) | instid1(VALU_DEP_3)
	v_fma_f64 v[170:171], v[48:49], s[28:29], v[168:169]
	v_fma_f64 v[122:123], v[48:49], s[50:51], v[168:169]
	;; [unrolled: 1-line block ×3, first 2 shown]
	v_add_f64_e32 v[128:129], v[170:171], v[128:129]
	v_mul_f64_e32 v[170:171], s[40:41], v[162:163]
	s_delay_alu instid0(VALU_DEP_4) | instskip(SKIP_1) | instid1(VALU_DEP_3)
	v_add_f64_e32 v[120:121], v[122:123], v[120:121]
	v_mul_f64_e32 v[162:163], s[30:31], v[162:163]
	v_fma_f64 v[172:173], v[36:37], s[14:15], v[170:171]
	v_fma_f64 v[122:123], v[36:37], s[14:15], -v[170:171]
	s_delay_alu instid0(VALU_DEP_2) | instskip(SKIP_1) | instid1(VALU_DEP_3)
	v_add_f64_e32 v[130:131], v[172:173], v[130:131]
	v_mul_f64_e32 v[172:173], s[14:15], v[160:161]
	v_add_f64_e32 v[68:69], v[122:123], v[68:69]
	v_mul_f64_e32 v[160:161], s[2:3], v[160:161]
	s_delay_alu instid0(VALU_DEP_3) | instskip(SKIP_1) | instid1(VALU_DEP_2)
	v_fma_f64 v[174:175], v[38:39], s[34:35], v[172:173]
	v_fma_f64 v[122:123], v[38:39], s[40:41], v[172:173]
	v_add_f64_e32 v[128:129], v[174:175], v[128:129]
	v_mul_f64_e32 v[174:175], s[42:43], v[154:155]
	s_delay_alu instid0(VALU_DEP_3) | instskip(SKIP_1) | instid1(VALU_DEP_3)
	v_add_f64_e32 v[120:121], v[122:123], v[120:121]
	v_mul_f64_e32 v[154:155], s[36:37], v[154:155]
	v_fma_f64 v[176:177], v[34:35], s[8:9], v[174:175]
	v_fma_f64 v[122:123], v[34:35], s[8:9], -v[174:175]
	s_delay_alu instid0(VALU_DEP_2) | instskip(SKIP_1) | instid1(VALU_DEP_3)
	v_add_f64_e32 v[130:131], v[176:177], v[130:131]
	v_mul_f64_e32 v[176:177], s[8:9], v[152:153]
	v_add_f64_e32 v[68:69], v[122:123], v[68:69]
	v_mul_f64_e32 v[152:153], s[18:19], v[152:153]
	s_delay_alu instid0(VALU_DEP_3) | instskip(SKIP_3) | instid1(VALU_DEP_4)
	v_fma_f64 v[178:179], v[40:41], s[24:25], v[176:177]
	v_fma_f64 v[122:123], v[40:41], s[42:43], v[176:177]
	v_add_nc_u32_e32 v177, 0x110, v213
	v_add_nc_u32_e32 v176, 0x220, v213
	v_add_f64_e32 v[128:129], v[178:179], v[128:129]
	v_mul_f64_e32 v[178:179], s[22:23], v[104:105]
	v_add_f64_e32 v[120:121], v[122:123], v[120:121]
	v_mul_f64_e32 v[104:105], s[24:25], v[104:105]
	s_delay_alu instid0(VALU_DEP_3) | instskip(SKIP_1) | instid1(VALU_DEP_2)
	v_fma_f64 v[180:181], v[46:47], s[20:21], v[178:179]
	v_fma_f64 v[122:123], v[46:47], s[20:21], -v[178:179]
	v_add_f64_e32 v[130:131], v[180:181], v[130:131]
	v_mul_f64_e32 v[180:181], s[20:21], v[89:90]
	s_delay_alu instid0(VALU_DEP_3) | instskip(SKIP_1) | instid1(VALU_DEP_3)
	v_add_f64_e32 v[68:69], v[122:123], v[68:69]
	v_mul_f64_e32 v[89:90], s[8:9], v[89:90]
	v_fma_f64 v[182:183], v[32:33], s[44:45], v[180:181]
	v_fma_f64 v[122:123], v[32:33], s[22:23], v[180:181]
	s_delay_alu instid0(VALU_DEP_2) | instskip(SKIP_1) | instid1(VALU_DEP_3)
	v_add_f64_e32 v[128:129], v[182:183], v[128:129]
	v_mul_f64_e32 v[182:183], s[26:27], v[77:78]
	v_add_f64_e32 v[120:121], v[122:123], v[120:121]
	v_mul_f64_e32 v[77:78], s[50:51], v[77:78]
	s_delay_alu instid0(VALU_DEP_3) | instskip(SKIP_1) | instid1(VALU_DEP_2)
	v_fma_f64 v[184:185], v[54:55], s[0:1], v[182:183]
	v_fma_f64 v[122:123], v[54:55], s[0:1], -v[182:183]
	v_add_f64_e32 v[130:131], v[184:185], v[130:131]
	v_mul_f64_e32 v[184:185], s[0:1], v[58:59]
	s_delay_alu instid0(VALU_DEP_3) | instskip(SKIP_1) | instid1(VALU_DEP_3)
	v_add_f64_e32 v[68:69], v[122:123], v[68:69]
	v_mul_f64_e32 v[58:59], s[16:17], v[58:59]
	v_fma_f64 v[186:187], v[44:45], s[48:49], v[184:185]
	v_fma_f64 v[122:123], v[44:45], s[26:27], v[184:185]
	s_delay_alu instid0(VALU_DEP_2) | instskip(SKIP_1) | instid1(VALU_DEP_3)
	v_add_f64_e32 v[128:129], v[186:187], v[128:129]
	v_mul_f64_e32 v[186:187], s[36:37], v[75:76]
	v_add_f64_e32 v[120:121], v[122:123], v[120:121]
	s_delay_alu instid0(VALU_DEP_2) | instskip(SKIP_1) | instid1(VALU_DEP_2)
	v_fma_f64 v[188:189], v[60:61], s[18:19], v[186:187]
	v_fma_f64 v[122:123], v[60:61], s[18:19], -v[186:187]
	v_add_f64_e32 v[130:131], v[188:189], v[130:131]
	v_mul_f64_e32 v[188:189], s[18:19], v[62:63]
	s_delay_alu instid0(VALU_DEP_3) | instskip(SKIP_1) | instid1(VALU_DEP_3)
	v_add_f64_e32 v[68:69], v[122:123], v[68:69]
	v_mul_f64_e32 v[62:63], s[12:13], v[62:63]
	v_fma_f64 v[122:123], v[52:53], s[36:37], v[188:189]
	v_fma_f64 v[190:191], v[52:53], s[54:55], v[188:189]
	s_delay_alu instid0(VALU_DEP_2) | instskip(SKIP_1) | instid1(VALU_DEP_3)
	v_add_f64_e32 v[122:123], v[122:123], v[120:121]
	v_fma_f64 v[120:121], v[71:72], s[12:13], -v[192:193]
	v_add_f64_e32 v[190:191], v[190:191], v[128:129]
	v_fma_f64 v[128:129], v[71:72], s[12:13], v[192:193]
	s_delay_alu instid0(VALU_DEP_4) | instskip(NEXT) | instid1(VALU_DEP_4)
	v_add_f64_e32 v[122:123], v[168:169], v[122:123]
	v_add_f64_e32 v[120:121], v[120:121], v[68:69]
	v_mul_f64_e32 v[68:69], s[44:45], v[166:167]
	s_delay_alu instid0(VALU_DEP_4) | instskip(SKIP_1) | instid1(VALU_DEP_3)
	v_add_f64_e32 v[128:129], v[128:129], v[130:131]
	v_fma_f64 v[130:131], v[64:65], s[46:47], v[194:195]
	v_fma_f64 v[166:167], v[42:43], s[20:21], v[68:69]
	v_fma_f64 v[68:69], v[42:43], s[20:21], -v[68:69]
	v_fma_f64 v[42:43], v[42:43], s[18:19], -v[79:80]
	s_delay_alu instid0(VALU_DEP_4) | instskip(NEXT) | instid1(VALU_DEP_4)
	v_add_f64_e32 v[130:131], v[130:131], v[190:191]
	v_add_f64_e32 v[118:119], v[166:167], v[118:119]
	v_fma_f64 v[166:167], v[48:49], s[22:23], v[164:165]
	v_add_f64_e32 v[68:69], v[68:69], v[114:115]
	v_fma_f64 v[114:115], v[48:49], s[44:45], v[164:165]
	v_fma_f64 v[48:49], v[48:49], s[54:55], v[81:82]
	v_add_f64_e32 v[42:43], v[42:43], v[50:51]
	v_add_f64_e32 v[116:117], v[166:167], v[116:117]
	v_fma_f64 v[166:167], v[36:37], s[2:3], v[162:163]
	v_add_f64_e32 v[112:113], v[114:115], v[112:113]
	v_fma_f64 v[114:115], v[36:37], s[2:3], -v[162:163]
	v_add_f64_e32 v[48:49], v[48:49], v[56:57]
	v_fma_f64 v[36:37], v[36:37], s[16:17], -v[83:84]
	v_add_f64_e32 v[118:119], v[166:167], v[118:119]
	v_fma_f64 v[166:167], v[38:39], s[38:39], v[160:161]
	v_add_f64_e32 v[68:69], v[114:115], v[68:69]
	v_fma_f64 v[114:115], v[38:39], s[30:31], v[160:161]
	v_fma_f64 v[38:39], v[38:39], s[28:29], v[85:86]
	v_add_f64_e32 v[36:37], v[36:37], v[42:43]
	v_add_f64_e32 v[116:117], v[166:167], v[116:117]
	v_fma_f64 v[166:167], v[34:35], s[18:19], v[154:155]
	v_add_f64_e32 v[112:113], v[114:115], v[112:113]
	v_fma_f64 v[114:115], v[34:35], s[18:19], -v[154:155]
	v_add_f64_e32 v[38:39], v[38:39], v[48:49]
	v_fma_f64 v[34:35], v[34:35], s[14:15], -v[87:88]
	;; [unrolled: 12-line block ×3, first 2 shown]
	v_add_f64_e32 v[118:119], v[166:167], v[118:119]
	v_fma_f64 v[166:167], v[32:33], s[42:43], v[89:90]
	v_fma_f64 v[89:90], v[32:33], s[24:25], v[89:90]
	;; [unrolled: 1-line block ×3, first 2 shown]
	v_add_f64_e32 v[68:69], v[104:105], v[68:69]
	v_add_f64_e32 v[34:35], v[38:39], v[34:35]
	v_fma_f64 v[38:39], v[44:45], s[24:25], v[106:107]
	v_add_f64_e32 v[116:117], v[166:167], v[116:117]
	v_fma_f64 v[166:167], v[54:55], s[16:17], v[77:78]
	v_add_f64_e32 v[89:90], v[89:90], v[112:113]
	v_fma_f64 v[77:78], v[54:55], s[16:17], -v[77:78]
	v_add_f64_e32 v[32:33], v[32:33], v[36:37]
	v_fma_f64 v[36:37], v[54:55], s[8:9], -v[97:98]
	v_add_f64_e32 v[118:119], v[166:167], v[118:119]
	v_fma_f64 v[166:167], v[44:45], s[28:29], v[58:59]
	v_fma_f64 v[58:59], v[44:45], s[50:51], v[58:59]
	v_add_f64_e32 v[68:69], v[77:78], v[68:69]
	v_add_f64_e32 v[34:35], v[36:37], v[34:35]
	;; [unrolled: 1-line block ×3, first 2 shown]
	v_fma_f64 v[36:37], v[60:61], s[2:3], -v[136:137]
	v_fma_f64 v[38:39], v[52:53], s[30:31], v[138:139]
	v_add_f64_e32 v[116:117], v[166:167], v[116:117]
	v_mul_f64_e32 v[166:167], s[52:53], v[75:76]
	v_add_f64_e32 v[58:59], v[58:59], v[89:90]
	v_add_f64_e32 v[34:35], v[36:37], v[34:35]
	;; [unrolled: 1-line block ×3, first 2 shown]
	v_fma_f64 v[32:33], v[71:72], s[0:1], -v[108:109]
	v_fma_f64 v[38:39], v[64:65], s[26:27], v[110:111]
	v_fma_f64 v[75:76], v[60:61], s[12:13], v[166:167]
	v_fma_f64 v[77:78], v[60:61], s[12:13], -v[166:167]
	s_delay_alu instid0(VALU_DEP_4) | instskip(NEXT) | instid1(VALU_DEP_4)
	v_add_f64_e32 v[32:33], v[32:33], v[34:35]
	v_add_f64_e32 v[34:35], v[38:39], v[36:37]
	s_delay_alu instid0(VALU_DEP_4) | instskip(SKIP_3) | instid1(VALU_DEP_3)
	v_add_f64_e32 v[75:76], v[75:76], v[118:119]
	v_fma_f64 v[118:119], v[52:53], s[46:47], v[62:63]
	v_fma_f64 v[62:63], v[52:53], s[52:53], v[62:63]
	v_add_f64_e32 v[68:69], v[77:78], v[68:69]
	v_add_f64_e32 v[116:117], v[118:119], v[116:117]
	v_mul_f64_e32 v[118:119], s[14:15], v[73:74]
	v_fma_f64 v[73:74], v[71:72], s[14:15], v[66:67]
	v_add_f64_e32 v[58:59], v[62:63], v[58:59]
	v_fma_f64 v[62:63], v[71:72], s[14:15], -v[66:67]
	s_delay_alu instid0(VALU_DEP_4) | instskip(NEXT) | instid1(VALU_DEP_4)
	v_fma_f64 v[66:67], v[64:65], s[34:35], v[118:119]
	v_add_f64_e32 v[73:74], v[73:74], v[75:76]
	v_fma_f64 v[75:76], v[64:65], s[40:41], v[118:119]
	s_delay_alu instid0(VALU_DEP_4) | instskip(NEXT) | instid1(VALU_DEP_4)
	v_add_f64_e32 v[112:113], v[62:63], v[68:69]
	v_add_f64_e32 v[114:115], v[66:67], v[58:59]
	s_delay_alu instid0(VALU_DEP_3)
	v_add_f64_e32 v[75:76], v[75:76], v[116:117]
	ds_store_b128 v212, v[20:23] offset:48
	ds_store_b128 v212, v[28:31] offset:64
	ds_store_b128 v212, v[140:143] offset:80
	ds_store_b128 v212, v[148:151] offset:96
	ds_store_b128 v212, v[128:131] offset:112
	ds_store_b128 v212, v[73:76] offset:128
	ds_store_b128 v212, v[112:115] offset:144
	ds_store_b128 v212, v[120:123] offset:160
	ds_store_b128 v212, v[156:159] offset:176
	ds_store_b128 v212, v[144:147] offset:192
	ds_store_b128 v212, v[24:27] offset:208
	ds_store_b128 v212, v[16:19] offset:224
	ds_store_b128 v212, v[8:11] offset:240
	ds_store_b128 v212, v[32:35] offset:256
	s_and_saveexec_b32 s33, vcc_lo
	s_cbranch_execz .LBB0_13
; %bb.12:
	s_clause 0x6
	scratch_load_b128 v[4:7], off, off offset:60 th:TH_LOAD_LU
	scratch_load_b128 v[8:11], off, off offset:92 th:TH_LOAD_LU
	;; [unrolled: 1-line block ×7, first 2 shown]
	v_add_f64_e32 v[0:1], v[246:247], v[242:243]
	v_add_f64_e32 v[2:3], v[244:245], v[240:241]
	scratch_store_b128 off, v[132:135], off offset:808 ; 16-byte Folded Spill
	scratch_load_b128 v[70:73], off, off offset:12 th:TH_LOAD_LU ; 16-byte Folded Reload
	scratch_store_b32 off, v217, off offset:952 ; 4-byte Folded Spill
	v_mov_b32_e32 v98, v220
	v_mov_b32_e32 v220, v219
	v_add_f64_e32 v[0:1], v[0:1], v[250:251]
	v_add_f64_e32 v[2:3], v[2:3], v[248:249]
	s_delay_alu instid0(VALU_DEP_2) | instskip(NEXT) | instid1(VALU_DEP_2)
	v_add_f64_e32 v[0:1], v[0:1], v[254:255]
	v_add_f64_e32 v[2:3], v[2:3], v[252:253]
	s_wait_loadcnt 0x7
	s_delay_alu instid0(VALU_DEP_2) | instskip(NEXT) | instid1(VALU_DEP_2)
	v_add_f64_e32 v[0:1], v[0:1], v[6:7]
	v_add_f64_e32 v[2:3], v[2:3], v[4:5]
	s_wait_loadcnt 0x4
	v_add_f64_e64 v[50:51], v[12:13], -v[28:29]
	v_add_f64_e64 v[48:49], v[14:15], -v[30:31]
	s_wait_loadcnt 0x1
	v_add_f64_e64 v[32:33], v[20:21], -v[24:25]
	v_add_f64_e64 v[144:145], v[22:23], -v[26:27]
	v_add_f64_e32 v[134:135], v[22:23], v[26:27]
	v_add_f64_e32 v[132:133], v[20:21], v[24:25]
	;; [unrolled: 1-line block ×4, first 2 shown]
	v_mul_f64_e32 v[178:179], s[46:47], v[50:51]
	v_mul_f64_e32 v[166:167], s[34:35], v[32:33]
	;; [unrolled: 1-line block ×9, first 2 shown]
	v_add_f64_e32 v[0:1], v[0:1], v[14:15]
	v_add_f64_e32 v[2:3], v[2:3], v[12:13]
	s_delay_alu instid0(VALU_DEP_2) | instskip(NEXT) | instid1(VALU_DEP_2)
	v_add_f64_e32 v[0:1], v[0:1], v[18:19]
	v_add_f64_e32 v[2:3], v[2:3], v[16:17]
	s_delay_alu instid0(VALU_DEP_2) | instskip(NEXT) | instid1(VALU_DEP_2)
	;; [unrolled: 3-line block ×3, first 2 shown]
	v_add_f64_e32 v[0:1], v[0:1], v[26:27]
	v_add_f64_e32 v[2:3], v[2:3], v[24:25]
	scratch_load_b128 v[24:27], off, off offset:172 th:TH_LOAD_LU ; 16-byte Folded Reload
	s_wait_loadcnt 0x0
	v_add_f64_e64 v[42:43], v[16:17], -v[24:25]
	v_add_f64_e64 v[40:41], v[18:19], -v[26:27]
	v_add_f64_e32 v[22:23], v[18:19], v[26:27]
	v_add_f64_e32 v[34:35], v[16:17], v[24:25]
	;; [unrolled: 1-line block ×6, first 2 shown]
	scratch_load_b128 v[12:15], off, off offset:108 th:TH_LOAD_LU ; 16-byte Folded Reload
	v_mul_f64_e32 v[194:195], s[30:31], v[42:43]
	v_mul_f64_e32 v[212:213], s[30:31], v[40:41]
	;; [unrolled: 1-line block ×4, first 2 shown]
	v_add_f64_e32 v[0:1], v[0:1], v[30:31]
	v_add_f64_e32 v[2:3], v[2:3], v[28:29]
	s_wait_loadcnt 0x0
	v_add_f64_e64 v[58:59], v[8:9], -v[12:13]
	v_add_f64_e64 v[56:57], v[10:11], -v[14:15]
	v_add_f64_e32 v[30:31], v[10:11], v[14:15]
	v_add_f64_e32 v[28:29], v[8:9], v[12:13]
	scratch_load_b128 v[8:11], off, off offset:76 th:TH_LOAD_LU ; 16-byte Folded Reload
	v_add_f64_e32 v[0:1], v[0:1], v[14:15]
	v_add_f64_e32 v[2:3], v[2:3], v[12:13]
	v_add_f64_e32 v[12:13], v[240:241], v[70:71]
	v_mul_f64_e32 v[146:147], s[38:39], v[56:57]
	v_mul_f64_e32 v[16:17], s[28:29], v[56:57]
	s_wait_loadcnt 0x0
	v_add_f64_e64 v[62:63], v[4:5], -v[8:9]
	v_add_f64_e64 v[60:61], v[6:7], -v[10:11]
	v_add_f64_e32 v[38:39], v[6:7], v[10:11]
	v_add_f64_e32 v[36:37], v[4:5], v[8:9]
	scratch_load_b128 v[4:7], off, off offset:44 th:TH_LOAD_LU ; 16-byte Folded Reload
	v_add_f64_e32 v[0:1], v[0:1], v[10:11]
	v_add_f64_e32 v[2:3], v[2:3], v[8:9]
	v_add_f64_e64 v[8:9], v[242:243], -v[72:73]
	v_add_f64_e32 v[10:11], v[242:243], v[72:73]
	v_mul_f64_e32 v[216:217], s[46:47], v[62:63]
	s_delay_alu instid0(VALU_DEP_3)
	v_mul_f64_e32 v[108:109], s[24:25], v[8:9]
	v_mul_f64_e32 v[110:111], s[52:53], v[8:9]
	;; [unrolled: 1-line block ×6, first 2 shown]
	v_fma_f64 v[122:123], v[12:13], s[8:9], -v[108:109]
	v_fma_f64 v[108:109], v[12:13], s[8:9], v[108:109]
	v_fma_f64 v[128:129], v[12:13], s[12:13], -v[110:111]
	v_fma_f64 v[130:131], v[12:13], s[14:15], -v[112:113]
	v_fma_f64 v[136:137], v[12:13], s[16:17], v[114:115]
	v_fma_f64 v[114:115], v[12:13], s[16:17], -v[114:115]
	v_fma_f64 v[138:139], v[12:13], s[18:19], v[116:117]
	v_fma_f64 v[116:117], v[12:13], s[18:19], -v[116:117]
	v_fma_f64 v[120:121], v[12:13], s[2:3], -v[106:107]
	v_fma_f64 v[106:107], v[12:13], s[2:3], v[106:107]
	v_fma_f64 v[110:111], v[12:13], s[12:13], v[110:111]
	;; [unrolled: 1-line block ×3, first 2 shown]
	v_add_f64_e32 v[122:123], v[244:245], v[122:123]
	v_add_f64_e32 v[136:137], v[244:245], v[136:137]
	;; [unrolled: 1-line block ×5, first 2 shown]
	s_wait_loadcnt 0x0
	v_add_f64_e64 v[66:67], v[252:253], -v[4:5]
	v_add_f64_e64 v[64:65], v[254:255], -v[6:7]
	v_add_f64_e32 v[46:47], v[254:255], v[6:7]
	v_add_f64_e32 v[44:45], v[252:253], v[4:5]
	;; [unrolled: 1-line block ×4, first 2 shown]
	scratch_load_b128 v[4:7], off, off offset:28 th:TH_LOAD_LU ; 16-byte Folded Reload
	v_mul_f64_e32 v[252:253], s[26:27], v[60:61]
	v_mul_f64_e32 v[254:255], s[38:39], v[58:59]
	s_wait_loadcnt 0x0
	v_add_f64_e64 v[68:69], v[248:249], -v[4:5]
	v_add_f64_e64 v[75:76], v[250:251], -v[6:7]
	v_add_f64_e32 v[52:53], v[250:251], v[6:7]
	v_add_f64_e32 v[54:55], v[248:249], v[4:5]
	;; [unrolled: 1-line block ×4, first 2 shown]
	v_add_f64_e64 v[6:7], v[240:241], -v[70:71]
	v_mul_f64_e32 v[248:249], s[24:25], v[64:65]
	v_mul_f64_e32 v[250:251], s[26:27], v[62:63]
	;; [unrolled: 1-line block ×4, first 2 shown]
	v_add_f64_e32 v[2:3], v[0:1], v[72:73]
	v_add_f64_e32 v[0:1], v[4:5], v[70:71]
	v_mul_f64_e32 v[71:72], s[24:25], v[6:7]
	v_mul_f64_e32 v[73:74], s[52:53], v[6:7]
	;; [unrolled: 1-line block ×8, first 2 shown]
	scratch_store_b128 off, v[0:3], off offset:12 ; 16-byte Folded Spill
	v_fma_f64 v[88:89], v[10:11], s[8:9], v[71:72]
	v_fma_f64 v[71:72], v[10:11], s[8:9], -v[71:72]
	v_fma_f64 v[90:91], v[10:11], s[12:13], v[73:74]
	v_fma_f64 v[92:93], v[10:11], s[14:15], v[78:79]
	v_fma_f64 v[94:95], v[10:11], s[16:17], -v[80:81]
	v_fma_f64 v[80:81], v[10:11], s[16:17], v[80:81]
	v_fma_f64 v[96:97], v[10:11], s[18:19], -v[82:83]
	v_fma_f64 v[82:83], v[10:11], s[18:19], v[82:83]
	v_fma_f64 v[84:85], v[10:11], s[0:1], v[4:5]
	v_fma_f64 v[4:5], v[10:11], s[0:1], -v[4:5]
	v_fma_f64 v[86:87], v[10:11], s[2:3], v[14:15]
	v_fma_f64 v[14:15], v[10:11], s[2:3], -v[14:15]
	v_fma_f64 v[73:74], v[10:11], s[12:13], -v[73:74]
	;; [unrolled: 1-line block ×4, first 2 shown]
	v_fma_f64 v[6:7], v[10:11], s[20:21], v[6:7]
	v_mul_f64_e32 v[10:11], s[26:27], v[8:9]
	v_mul_f64_e32 v[8:9], s[22:23], v[8:9]
	v_add_f64_e32 v[88:89], v[246:247], v[88:89]
	v_add_f64_e32 v[0:1], v[246:247], v[71:72]
	;; [unrolled: 1-line block ×5, first 2 shown]
	v_mul_f64_e32 v[14:15], s[30:31], v[66:67]
	v_add_f64_e32 v[152:153], v[246:247], v[78:79]
	v_add_f64_e32 v[148:149], v[246:247], v[73:74]
	;; [unrolled: 1-line block ×3, first 2 shown]
	v_fma_f64 v[118:119], v[12:13], s[0:1], -v[10:11]
	v_fma_f64 v[140:141], v[12:13], s[20:21], v[8:9]
	v_fma_f64 v[8:9], v[12:13], s[20:21], -v[8:9]
	v_fma_f64 v[10:11], v[12:13], s[0:1], v[10:11]
	v_add_f64_e32 v[12:13], v[246:247], v[84:85]
	v_mul_f64_e32 v[110:111], s[24:25], v[75:76]
	scratch_store_b64 off, v[0:1], off offset:864 ; 8-byte Folded Spill
	v_add_f64_e32 v[0:1], v[244:245], v[108:109]
	v_mul_f64_e32 v[108:109], s[22:23], v[50:51]
	v_fma_f64 v[78:79], v[46:47], s[2:3], v[14:15]
	v_add_f64_e32 v[84:85], v[244:245], v[118:119]
	v_add_f64_e32 v[118:119], v[246:247], v[4:5]
	;; [unrolled: 1-line block ×3, first 2 shown]
	scratch_store_b64 off, v[0:1], off offset:856 ; 8-byte Folded Spill
	v_add_f64_e32 v[0:1], v[246:247], v[90:91]
	v_add_f64_e32 v[90:91], v[246:247], v[96:97]
	v_add_f64_e32 v[96:97], v[244:245], v[140:141]
	v_mul_f64_e32 v[140:141], s[46:47], v[48:49]
	scratch_store_b64 off, v[0:1], off offset:848 ; 8-byte Folded Spill
	v_add_f64_e32 v[0:1], v[244:245], v[128:129]
	v_mul_f64_e32 v[128:129], s[44:45], v[32:33]
	scratch_store_b64 off, v[0:1], off offset:840 ; 8-byte Folded Spill
	v_add_f64_e32 v[0:1], v[246:247], v[92:93]
	v_add_f64_e32 v[92:93], v[246:247], v[104:105]
	;; [unrolled: 1-line block ×3, first 2 shown]
	v_mul_f64_e32 v[138:139], s[50:51], v[42:43]
	scratch_store_b64 off, v[0:1], off offset:188 ; 8-byte Folded Spill
	v_add_f64_e32 v[0:1], v[244:245], v[130:131]
	v_mul_f64_e32 v[130:131], s[46:47], v[68:69]
	scratch_store_b64 off, v[0:1], off offset:172 ; 8-byte Folded Spill
	v_add_f64_e32 v[0:1], v[246:247], v[80:81]
	scratch_store_b64 off, v[0:1], off offset:156 ; 8-byte Folded Spill
	v_add_f64_e32 v[0:1], v[244:245], v[114:115]
	v_mul_f64_e32 v[114:115], s[36:37], v[56:57]
	scratch_store_b64 off, v[0:1], off offset:140 ; 8-byte Folded Spill
	v_add_f64_e32 v[0:1], v[246:247], v[82:83]
	;; [unrolled: 5-line block ×3, first 2 shown]
	v_mul_f64_e32 v[246:247], s[24:25], v[66:67]
	scratch_store_b64 off, v[0:1], off offset:76 ; 8-byte Folded Spill
	v_add_f64_e32 v[0:1], v[244:245], v[8:9]
	v_mul_f64_e32 v[8:9], s[44:45], v[68:69]
	v_mul_f64_e32 v[244:245], s[40:41], v[75:76]
	scratch_store_b64 off, v[0:1], off offset:44 ; 8-byte Folded Spill
	v_fma_f64 v[4:5], v[52:53], s[20:21], v[8:9]
	v_fma_f64 v[8:9], v[52:53], s[20:21], -v[8:9]
	s_delay_alu instid0(VALU_DEP_2) | instskip(SKIP_1) | instid1(VALU_DEP_3)
	v_add_f64_e32 v[4:5], v[4:5], v[12:13]
	v_mul_f64_e32 v[12:13], s[44:45], v[75:76]
	v_add_f64_e32 v[8:9], v[8:9], v[118:119]
	s_delay_alu instid0(VALU_DEP_3) | instskip(NEXT) | instid1(VALU_DEP_3)
	v_add_f64_e32 v[4:5], v[78:79], v[4:5]
	v_fma_f64 v[6:7], v[54:55], s[20:21], -v[12:13]
	v_mul_f64_e32 v[78:79], s[30:31], v[64:65]
	v_fma_f64 v[12:13], v[54:55], s[20:21], v[12:13]
	s_delay_alu instid0(VALU_DEP_3) | instskip(NEXT) | instid1(VALU_DEP_3)
	v_add_f64_e32 v[6:7], v[6:7], v[84:85]
	v_fma_f64 v[80:81], v[44:45], s[2:3], -v[78:79]
	s_delay_alu instid0(VALU_DEP_3) | instskip(SKIP_2) | instid1(VALU_DEP_4)
	v_add_f64_e32 v[10:11], v[12:13], v[10:11]
	v_fma_f64 v[12:13], v[46:47], s[2:3], -v[14:15]
	v_fma_f64 v[14:15], v[132:133], s[14:15], v[168:169]
	v_add_f64_e32 v[6:7], v[80:81], v[6:7]
	v_mul_f64_e32 v[80:81], s[36:37], v[62:63]
	s_delay_alu instid0(VALU_DEP_4) | instskip(SKIP_2) | instid1(VALU_DEP_4)
	v_add_f64_e32 v[8:9], v[12:13], v[8:9]
	v_fma_f64 v[12:13], v[44:45], s[2:3], v[78:79]
	v_mul_f64_e32 v[78:79], s[50:51], v[68:69]
	v_fma_f64 v[82:83], v[38:39], s[18:19], v[80:81]
	s_delay_alu instid0(VALU_DEP_3) | instskip(SKIP_2) | instid1(VALU_DEP_4)
	v_add_f64_e32 v[10:11], v[12:13], v[10:11]
	v_fma_f64 v[12:13], v[38:39], s[18:19], -v[80:81]
	v_mul_f64_e32 v[80:81], s[50:51], v[75:76]
	v_add_f64_e32 v[4:5], v[82:83], v[4:5]
	v_mul_f64_e32 v[82:83], s[36:37], v[60:61]
	s_delay_alu instid0(VALU_DEP_4) | instskip(NEXT) | instid1(VALU_DEP_2)
	v_add_f64_e32 v[8:9], v[12:13], v[8:9]
	v_fma_f64 v[84:85], v[36:37], s[18:19], -v[82:83]
	v_fma_f64 v[12:13], v[36:37], s[18:19], v[82:83]
	v_mul_f64_e32 v[82:83], s[40:41], v[66:67]
	s_delay_alu instid0(VALU_DEP_3) | instskip(SKIP_1) | instid1(VALU_DEP_4)
	v_add_f64_e32 v[6:7], v[84:85], v[6:7]
	v_mul_f64_e32 v[84:85], s[24:25], v[58:59]
	v_add_f64_e32 v[10:11], v[12:13], v[10:11]
	s_delay_alu instid0(VALU_DEP_2) | instskip(SKIP_3) | instid1(VALU_DEP_4)
	v_fma_f64 v[154:155], v[30:31], s[8:9], v[84:85]
	v_fma_f64 v[12:13], v[30:31], s[8:9], -v[84:85]
	v_fma_f64 v[84:85], v[46:47], s[14:15], v[82:83]
	v_fma_f64 v[82:83], v[46:47], s[14:15], -v[82:83]
	v_add_f64_e32 v[4:5], v[154:155], v[4:5]
	v_mul_f64_e32 v[154:155], s[24:25], v[56:57]
	v_add_f64_e32 v[8:9], v[12:13], v[8:9]
	s_delay_alu instid0(VALU_DEP_2) | instskip(SKIP_1) | instid1(VALU_DEP_2)
	v_fma_f64 v[156:157], v[28:29], s[8:9], -v[154:155]
	v_fma_f64 v[12:13], v[28:29], s[8:9], v[154:155]
	v_add_f64_e32 v[6:7], v[156:157], v[6:7]
	v_mul_f64_e32 v[156:157], s[50:51], v[50:51]
	s_delay_alu instid0(VALU_DEP_3) | instskip(NEXT) | instid1(VALU_DEP_2)
	v_add_f64_e32 v[10:11], v[12:13], v[10:11]
	v_fma_f64 v[158:159], v[26:27], s[16:17], v[156:157]
	v_fma_f64 v[12:13], v[26:27], s[16:17], -v[156:157]
	s_delay_alu instid0(VALU_DEP_2) | instskip(SKIP_1) | instid1(VALU_DEP_3)
	v_add_f64_e32 v[4:5], v[158:159], v[4:5]
	v_mul_f64_e32 v[158:159], s[50:51], v[48:49]
	v_add_f64_e32 v[8:9], v[12:13], v[8:9]
	s_delay_alu instid0(VALU_DEP_2) | instskip(SKIP_1) | instid1(VALU_DEP_2)
	v_fma_f64 v[160:161], v[24:25], s[16:17], -v[158:159]
	v_fma_f64 v[12:13], v[24:25], s[16:17], v[158:159]
	v_add_f64_e32 v[6:7], v[160:161], v[6:7]
	v_mul_f64_e32 v[160:161], s[52:53], v[42:43]
	s_delay_alu instid0(VALU_DEP_3) | instskip(NEXT) | instid1(VALU_DEP_2)
	v_add_f64_e32 v[10:11], v[12:13], v[10:11]
	v_fma_f64 v[162:163], v[22:23], s[12:13], v[160:161]
	v_fma_f64 v[12:13], v[22:23], s[12:13], -v[160:161]
	s_delay_alu instid0(VALU_DEP_2) | instskip(SKIP_1) | instid1(VALU_DEP_3)
	v_add_f64_e32 v[4:5], v[162:163], v[4:5]
	v_mul_f64_e32 v[162:163], s[52:53], v[40:41]
	v_add_f64_e32 v[8:9], v[12:13], v[8:9]
	s_delay_alu instid0(VALU_DEP_2) | instskip(SKIP_1) | instid1(VALU_DEP_2)
	v_fma_f64 v[164:165], v[34:35], s[12:13], -v[162:163]
	v_fma_f64 v[12:13], v[34:35], s[12:13], v[162:163]
	v_add_f64_e32 v[164:165], v[164:165], v[6:7]
	v_fma_f64 v[6:7], v[134:135], s[14:15], v[166:167]
	s_delay_alu instid0(VALU_DEP_3) | instskip(SKIP_2) | instid1(VALU_DEP_4)
	v_add_f64_e32 v[12:13], v[12:13], v[10:11]
	v_fma_f64 v[10:11], v[134:135], s[14:15], -v[166:167]
	v_mul_f64_e32 v[166:167], s[52:53], v[32:33]
	v_add_f64_e32 v[2:3], v[6:7], v[4:5]
	v_fma_f64 v[4:5], v[132:133], s[14:15], -v[168:169]
	v_mul_f64_e32 v[168:169], s[52:53], v[144:145]
	s_delay_alu instid0(VALU_DEP_2)
	v_add_f64_e32 v[0:1], v[4:5], v[164:165]
	v_mul_f64_e32 v[4:5], s[44:45], v[62:63]
	scratch_store_b128 off, v[0:3], off offset:28 ; 16-byte Folded Spill
	v_add_f64_e32 v[0:1], v[14:15], v[12:13]
	v_fma_f64 v[12:13], v[52:53], s[16:17], v[78:79]
	v_fma_f64 v[14:15], v[54:55], s[16:17], -v[80:81]
	v_fma_f64 v[78:79], v[52:53], s[16:17], -v[78:79]
	v_fma_f64 v[80:81], v[54:55], s[16:17], v[80:81]
	v_add_f64_e32 v[2:3], v[10:11], v[8:9]
	v_mul_f64_e32 v[8:9], s[44:45], v[60:61]
	v_fma_f64 v[10:11], v[34:35], s[8:9], v[18:19]
	v_add_f64_e32 v[12:13], v[12:13], v[86:87]
	v_add_f64_e32 v[14:15], v[14:15], v[120:121]
	;; [unrolled: 1-line block ×4, first 2 shown]
	scratch_store_b128 off, v[0:3], off offset:60 ; 16-byte Folded Spill
	v_mul_f64_e32 v[142:143], s[22:23], v[64:65]
	v_add_f64_e32 v[12:13], v[84:85], v[12:13]
	v_mul_f64_e32 v[84:85], s[40:41], v[64:65]
	v_add_f64_e32 v[78:79], v[82:83], v[78:79]
	s_delay_alu instid0(VALU_DEP_2) | instskip(SKIP_2) | instid1(VALU_DEP_3)
	v_fma_f64 v[86:87], v[44:45], s[14:15], -v[84:85]
	v_fma_f64 v[82:83], v[44:45], s[14:15], v[84:85]
	v_fma_f64 v[84:85], v[132:133], s[12:13], v[168:169]
	v_add_f64_e32 v[14:15], v[86:87], v[14:15]
	v_mul_f64_e32 v[86:87], s[42:43], v[62:63]
	s_delay_alu instid0(VALU_DEP_4) | instskip(NEXT) | instid1(VALU_DEP_2)
	v_add_f64_e32 v[80:81], v[82:83], v[80:81]
	v_fma_f64 v[118:119], v[38:39], s[8:9], v[86:87]
	v_fma_f64 v[82:83], v[38:39], s[8:9], -v[86:87]
	s_delay_alu instid0(VALU_DEP_2) | instskip(SKIP_1) | instid1(VALU_DEP_3)
	v_add_f64_e32 v[12:13], v[118:119], v[12:13]
	v_mul_f64_e32 v[118:119], s[42:43], v[60:61]
	v_add_f64_e32 v[78:79], v[82:83], v[78:79]
	s_delay_alu instid0(VALU_DEP_2) | instskip(SKIP_2) | instid1(VALU_DEP_3)
	v_fma_f64 v[120:121], v[36:37], s[8:9], -v[118:119]
	v_fma_f64 v[82:83], v[36:37], s[8:9], v[118:119]
	v_mul_f64_e32 v[118:119], s[22:23], v[66:67]
	v_add_f64_e32 v[14:15], v[120:121], v[14:15]
	v_mul_f64_e32 v[120:121], s[22:23], v[58:59]
	s_delay_alu instid0(VALU_DEP_4) | instskip(NEXT) | instid1(VALU_DEP_4)
	v_add_f64_e32 v[80:81], v[82:83], v[80:81]
	v_fma_f64 v[86:87], v[46:47], s[20:21], v[118:119]
	v_fma_f64 v[118:119], v[46:47], s[20:21], -v[118:119]
	s_delay_alu instid0(VALU_DEP_4) | instskip(SKIP_2) | instid1(VALU_DEP_3)
	v_fma_f64 v[154:155], v[30:31], s[20:21], v[120:121]
	v_fma_f64 v[82:83], v[30:31], s[20:21], -v[120:121]
	v_mul_f64_e32 v[120:121], s[46:47], v[75:76]
	v_add_f64_e32 v[12:13], v[154:155], v[12:13]
	v_mul_f64_e32 v[154:155], s[22:23], v[56:57]
	s_delay_alu instid0(VALU_DEP_4) | instskip(NEXT) | instid1(VALU_DEP_2)
	v_add_f64_e32 v[78:79], v[82:83], v[78:79]
	v_fma_f64 v[156:157], v[28:29], s[20:21], -v[154:155]
	v_fma_f64 v[82:83], v[28:29], s[20:21], v[154:155]
	v_mul_f64_e32 v[154:155], s[30:31], v[62:63]
	s_delay_alu instid0(VALU_DEP_3) | instskip(SKIP_1) | instid1(VALU_DEP_4)
	v_add_f64_e32 v[14:15], v[156:157], v[14:15]
	v_mul_f64_e32 v[156:157], s[26:27], v[50:51]
	v_add_f64_e32 v[80:81], v[82:83], v[80:81]
	s_delay_alu instid0(VALU_DEP_2) | instskip(SKIP_2) | instid1(VALU_DEP_3)
	v_fma_f64 v[158:159], v[26:27], s[0:1], v[156:157]
	v_fma_f64 v[82:83], v[26:27], s[0:1], -v[156:157]
	v_mul_f64_e32 v[156:157], s[30:31], v[60:61]
	v_add_f64_e32 v[12:13], v[158:159], v[12:13]
	v_mul_f64_e32 v[158:159], s[26:27], v[48:49]
	s_delay_alu instid0(VALU_DEP_4) | instskip(NEXT) | instid1(VALU_DEP_2)
	v_add_f64_e32 v[78:79], v[82:83], v[78:79]
	v_fma_f64 v[160:161], v[24:25], s[0:1], -v[158:159]
	v_fma_f64 v[82:83], v[24:25], s[0:1], v[158:159]
	v_mul_f64_e32 v[158:159], s[34:35], v[58:59]
	s_delay_alu instid0(VALU_DEP_3) | instskip(SKIP_1) | instid1(VALU_DEP_4)
	v_add_f64_e32 v[14:15], v[160:161], v[14:15]
	v_mul_f64_e32 v[160:161], s[36:37], v[42:43]
	v_add_f64_e32 v[80:81], v[82:83], v[80:81]
	s_delay_alu instid0(VALU_DEP_2) | instskip(SKIP_2) | instid1(VALU_DEP_3)
	v_fma_f64 v[162:163], v[22:23], s[18:19], v[160:161]
	v_fma_f64 v[82:83], v[22:23], s[18:19], -v[160:161]
	v_mul_f64_e32 v[160:161], s[34:35], v[56:57]
	v_add_f64_e32 v[12:13], v[162:163], v[12:13]
	v_mul_f64_e32 v[162:163], s[36:37], v[40:41]
	s_delay_alu instid0(VALU_DEP_4) | instskip(NEXT) | instid1(VALU_DEP_2)
	v_add_f64_e32 v[78:79], v[82:83], v[78:79]
	v_fma_f64 v[164:165], v[34:35], s[18:19], -v[162:163]
	v_fma_f64 v[82:83], v[34:35], s[18:19], v[162:163]
	v_mul_f64_e32 v[162:163], s[54:55], v[50:51]
	s_delay_alu instid0(VALU_DEP_3) | instskip(SKIP_1) | instid1(VALU_DEP_4)
	v_add_f64_e32 v[164:165], v[164:165], v[14:15]
	v_fma_f64 v[14:15], v[134:135], s[12:13], v[166:167]
	v_add_f64_e32 v[82:83], v[82:83], v[80:81]
	v_fma_f64 v[80:81], v[134:135], s[12:13], -v[166:167]
	v_mul_f64_e32 v[166:167], s[26:27], v[42:43]
	s_delay_alu instid0(VALU_DEP_4) | instskip(SKIP_2) | instid1(VALU_DEP_2)
	v_add_f64_e32 v[2:3], v[14:15], v[12:13]
	v_fma_f64 v[12:13], v[132:133], s[12:13], -v[168:169]
	v_mul_f64_e32 v[168:169], s[26:27], v[40:41]
	v_add_f64_e32 v[0:1], v[12:13], v[164:165]
	v_mul_f64_e32 v[164:165], s[54:55], v[48:49]
	v_dual_mov_b32 v12, v100 :: v_dual_mov_b32 v15, v103
	v_mov_b32_e32 v13, v101
	scratch_store_b128 off, v[0:3], off offset:124 ; 16-byte Folded Spill
	v_add_f64_e32 v[0:1], v[84:85], v[82:83]
	v_fma_f64 v[82:83], v[52:53], s[12:13], v[130:131]
	v_fma_f64 v[84:85], v[54:55], s[12:13], -v[120:121]
	v_add_f64_e32 v[2:3], v[80:81], v[78:79]
	s_delay_alu instid0(VALU_DEP_3) | instskip(NEXT) | instid1(VALU_DEP_3)
	v_add_f64_e32 v[82:83], v[82:83], v[88:89]
	v_add_f64_e32 v[84:85], v[84:85], v[122:123]
	scratch_store_b128 off, v[0:3], off offset:204 ; 16-byte Folded Spill
	v_mul_f64_e32 v[0:1], s[54:55], v[68:69]
	v_mul_f64_e32 v[122:123], s[48:49], v[66:67]
	;; [unrolled: 1-line block ×3, first 2 shown]
	v_add_f64_e32 v[82:83], v[86:87], v[82:83]
	v_fma_f64 v[86:87], v[44:45], s[20:21], -v[142:143]
	scratch_store_b64 off, v[0:1], off offset:872 ; 8-byte Folded Spill
	v_fma_f64 v[6:7], v[24:25], s[2:3], v[2:3]
	v_fma_f64 v[2:3], v[24:25], s[2:3], -v[2:3]
	v_add_f64_e32 v[84:85], v[86:87], v[84:85]
	v_fma_f64 v[86:87], v[38:39], s[2:3], v[154:155]
	s_delay_alu instid0(VALU_DEP_1) | instskip(SKIP_1) | instid1(VALU_DEP_1)
	v_add_f64_e32 v[82:83], v[86:87], v[82:83]
	v_fma_f64 v[86:87], v[36:37], s[2:3], -v[156:157]
	v_add_f64_e32 v[84:85], v[86:87], v[84:85]
	v_fma_f64 v[86:87], v[30:31], s[14:15], v[158:159]
	s_delay_alu instid0(VALU_DEP_1) | instskip(SKIP_1) | instid1(VALU_DEP_1)
	v_add_f64_e32 v[82:83], v[86:87], v[82:83]
	;; [unrolled: 5-line block ×4, first 2 shown]
	v_fma_f64 v[86:87], v[34:35], s[0:1], -v[168:169]
	v_add_f64_e32 v[86:87], v[86:87], v[84:85]
	v_fma_f64 v[84:85], v[134:135], s[16:17], v[170:171]
	s_delay_alu instid0(VALU_DEP_1) | instskip(SKIP_2) | instid1(VALU_DEP_2)
	v_add_f64_e32 v[182:183], v[84:85], v[82:83]
	v_fma_f64 v[82:83], v[132:133], s[16:17], -v[172:173]
	v_mul_f64_e32 v[84:85], s[22:23], v[48:49]
	v_add_f64_e32 v[180:181], v[82:83], v[86:87]
	v_fma_f64 v[86:87], v[52:53], s[18:19], -v[0:1]
	v_mul_f64_e32 v[0:1], s[54:55], v[75:76]
	v_mul_f64_e32 v[82:83], s[40:41], v[40:41]
	s_delay_alu instid0(VALU_DEP_3) | instskip(SKIP_3) | instid1(VALU_DEP_2)
	v_add_f64_e32 v[86:87], v[86:87], v[92:93]
	scratch_store_b64 off, v[0:1], off offset:880 ; 8-byte Folded Spill
	v_fma_f64 v[88:89], v[54:55], s[18:19], v[0:1]
	v_mul_f64_e32 v[0:1], s[28:29], v[66:67]
	v_add_f64_e32 v[88:89], v[88:89], v[96:97]
	scratch_store_b64 off, v[0:1], off offset:888 ; 8-byte Folded Spill
	v_fma_f64 v[92:93], v[46:47], s[16:17], -v[0:1]
	v_mul_f64_e32 v[0:1], s[28:29], v[64:65]
	v_fma_f64 v[96:97], v[46:47], s[8:9], -v[246:247]
	s_delay_alu instid0(VALU_DEP_3) | instskip(SKIP_4) | instid1(VALU_DEP_3)
	v_add_f64_e32 v[86:87], v[92:93], v[86:87]
	scratch_store_b64 off, v[0:1], off offset:896 ; 8-byte Folded Spill
	v_fma_f64 v[92:93], v[44:45], s[16:17], v[0:1]
	v_mul_f64_e32 v[0:1], s[40:41], v[62:63]
	v_mul_f64_e32 v[62:63], s[28:29], v[62:63]
	v_add_f64_e32 v[88:89], v[92:93], v[88:89]
	scratch_store_b64 off, v[0:1], off offset:904 ; 8-byte Folded Spill
	v_fma_f64 v[92:93], v[38:39], s[14:15], -v[0:1]
	v_mul_f64_e32 v[0:1], s[40:41], v[60:61]
	s_delay_alu instid0(VALU_DEP_2) | instskip(SKIP_3) | instid1(VALU_DEP_2)
	v_add_f64_e32 v[86:87], v[92:93], v[86:87]
	scratch_store_b64 off, v[0:1], off offset:912 ; 8-byte Folded Spill
	v_fma_f64 v[92:93], v[36:37], s[14:15], v[0:1]
	v_mul_f64_e32 v[0:1], s[52:53], v[58:59]
	v_add_f64_e32 v[88:89], v[92:93], v[88:89]
	scratch_store_b64 off, v[0:1], off offset:920 ; 8-byte Folded Spill
	v_fma_f64 v[92:93], v[30:31], s[12:13], -v[0:1]
	v_mul_f64_e32 v[0:1], s[52:53], v[56:57]
	v_mul_f64_e32 v[56:57], s[26:27], v[56:57]
	s_delay_alu instid0(VALU_DEP_3) | instskip(SKIP_3) | instid1(VALU_DEP_2)
	v_add_f64_e32 v[86:87], v[92:93], v[86:87]
	scratch_store_b64 off, v[0:1], off offset:928 ; 8-byte Folded Spill
	v_fma_f64 v[92:93], v[28:29], s[12:13], v[0:1]
	v_mul_f64_e32 v[0:1], s[24:25], v[50:51]
	v_add_f64_e32 v[88:89], v[92:93], v[88:89]
	scratch_store_b64 off, v[0:1], off offset:936 ; 8-byte Folded Spill
	v_fma_f64 v[92:93], v[26:27], s[8:9], -v[0:1]
	v_mul_f64_e32 v[0:1], s[24:25], v[48:49]
	v_mul_f64_e32 v[48:49], s[34:35], v[48:49]
	s_delay_alu instid0(VALU_DEP_3) | instskip(NEXT) | instid1(VALU_DEP_3)
	v_add_f64_e32 v[86:87], v[92:93], v[86:87]
	v_fma_f64 v[92:93], v[24:25], s[8:9], v[0:1]
	scratch_store_b64 off, v[0:1], off offset:944 ; 8-byte Folded Spill
	v_mul_f64_e32 v[0:1], s[30:31], v[50:51]
	v_mul_f64_e32 v[50:51], s[34:35], v[50:51]
	v_add_f64_e32 v[88:89], v[92:93], v[88:89]
	v_fma_f64 v[92:93], v[22:23], s[2:3], -v[194:195]
	s_delay_alu instid0(VALU_DEP_1) | instskip(SKIP_1) | instid1(VALU_DEP_1)
	v_add_f64_e32 v[86:87], v[92:93], v[86:87]
	v_fma_f64 v[92:93], v[34:35], s[2:3], v[212:213]
	v_add_f64_e32 v[92:93], v[92:93], v[88:89]
	v_fma_f64 v[88:89], v[134:135], s[0:1], -v[214:215]
	s_delay_alu instid0(VALU_DEP_1) | instskip(SKIP_4) | instid1(VALU_DEP_4)
	v_add_f64_e32 v[242:243], v[88:89], v[86:87]
	v_fma_f64 v[86:87], v[132:133], s[0:1], v[192:193]
	v_dual_mov_b32 v88, v237 :: v_dual_mov_b32 v237, v238
	v_mov_b32_e32 v14, v102
	v_mul_f64_e32 v[100:101], s[28:29], v[58:59]
	v_add_f64_e32 v[240:241], v[86:87], v[92:93]
	v_fma_f64 v[92:93], v[52:53], s[14:15], -v[150:151]
	v_mul_f64_e32 v[86:87], s[36:37], v[58:59]
	v_mul_f64_e32 v[58:59], s[26:27], v[58:59]
	v_fma_f64 v[102:103], v[30:31], s[16:17], -v[100:101]
	s_delay_alu instid0(VALU_DEP_4) | instskip(SKIP_1) | instid1(VALU_DEP_2)
	v_add_f64_e32 v[90:91], v[92:93], v[90:91]
	v_fma_f64 v[92:93], v[54:55], s[14:15], v[244:245]
	v_add_f64_e32 v[90:91], v[96:97], v[90:91]
	s_delay_alu instid0(VALU_DEP_2) | instskip(SKIP_2) | instid1(VALU_DEP_2)
	v_add_f64_e32 v[92:93], v[92:93], v[104:105]
	v_fma_f64 v[96:97], v[44:45], s[8:9], v[248:249]
	v_fma_f64 v[104:105], v[46:47], s[0:1], -v[122:123]
	v_add_f64_e32 v[92:93], v[96:97], v[92:93]
	v_fma_f64 v[96:97], v[38:39], s[0:1], -v[250:251]
	s_delay_alu instid0(VALU_DEP_1) | instskip(SKIP_1) | instid1(VALU_DEP_1)
	v_add_f64_e32 v[90:91], v[96:97], v[90:91]
	v_fma_f64 v[96:97], v[36:37], s[0:1], v[252:253]
	v_add_f64_e32 v[92:93], v[96:97], v[92:93]
	v_fma_f64 v[96:97], v[30:31], s[2:3], -v[254:255]
	s_delay_alu instid0(VALU_DEP_1) | instskip(SKIP_1) | instid1(VALU_DEP_1)
	v_add_f64_e32 v[90:91], v[96:97], v[90:91]
	v_fma_f64 v[96:97], v[28:29], s[2:3], v[146:147]
	;; [unrolled: 5-line block ×4, first 2 shown]
	v_add_f64_e32 v[96:97], v[96:97], v[92:93]
	v_fma_f64 v[92:93], v[134:135], s[20:21], -v[128:129]
	s_delay_alu instid0(VALU_DEP_1) | instskip(SKIP_4) | instid1(VALU_DEP_4)
	v_add_f64_e32 v[188:189], v[92:93], v[90:91]
	v_fma_f64 v[90:91], v[132:133], s[20:21], v[174:175]
	v_mov_b32_e32 v93, v218
	v_mul_f64_e32 v[218:219], s[46:47], v[60:61]
	v_mul_f64_e32 v[60:61], s[28:29], v[60:61]
	v_add_f64_e32 v[186:187], v[90:91], v[96:97]
	v_fma_f64 v[96:97], v[52:53], s[8:9], -v[116:117]
	v_mul_f64_e32 v[91:92], s[40:41], v[42:43]
	v_mul_f64_e32 v[89:90], s[30:31], v[32:33]
	s_delay_alu instid0(VALU_DEP_3) | instskip(SKIP_1) | instid1(VALU_DEP_2)
	v_add_f64_e32 v[94:95], v[96:97], v[94:95]
	v_fma_f64 v[96:97], v[54:55], s[8:9], v[110:111]
	v_add_f64_e32 v[94:95], v[104:105], v[94:95]
	s_delay_alu instid0(VALU_DEP_2) | instskip(SKIP_1) | instid1(VALU_DEP_1)
	v_add_f64_e32 v[96:97], v[96:97], v[136:137]
	v_mul_f64_e32 v[136:137], s[48:49], v[64:65]
	v_fma_f64 v[104:105], v[44:45], s[0:1], v[136:137]
	s_delay_alu instid0(VALU_DEP_1) | instskip(SKIP_1) | instid1(VALU_DEP_1)
	v_add_f64_e32 v[96:97], v[104:105], v[96:97]
	v_fma_f64 v[104:105], v[38:39], s[12:13], -v[216:217]
	v_add_f64_e32 v[94:95], v[104:105], v[94:95]
	v_fma_f64 v[104:105], v[36:37], s[12:13], v[218:219]
	s_delay_alu instid0(VALU_DEP_1) | instskip(SKIP_1) | instid1(VALU_DEP_1)
	v_add_f64_e32 v[96:97], v[104:105], v[96:97]
	v_fma_f64 v[104:105], v[30:31], s[18:19], -v[86:87]
	v_add_f64_e32 v[94:95], v[104:105], v[94:95]
	;; [unrolled: 5-line block ×6, first 2 shown]
	v_mul_f64_e32 v[152:153], s[26:27], v[75:76]
	v_mul_f64_e32 v[74:75], s[38:39], v[75:76]
	;; [unrolled: 1-line block ×3, first 2 shown]
	s_delay_alu instid0(VALU_DEP_3) | instskip(NEXT) | instid1(VALU_DEP_1)
	v_fma_f64 v[106:107], v[54:55], s[0:1], v[152:153]
	v_add_f64_e32 v[106:107], v[106:107], v[112:113]
	v_mul_f64_e32 v[112:113], s[46:47], v[66:67]
	v_mul_f64_e32 v[66:67], s[36:37], v[66:67]
	s_delay_alu instid0(VALU_DEP_2) | instskip(NEXT) | instid1(VALU_DEP_1)
	v_fma_f64 v[238:239], v[46:47], s[12:13], -v[112:113]
	v_add_f64_e32 v[104:105], v[238:239], v[104:105]
	v_mul_f64_e32 v[238:239], s[46:47], v[64:65]
	v_mul_f64_e32 v[64:65], s[36:37], v[64:65]
	s_delay_alu instid0(VALU_DEP_2) | instskip(NEXT) | instid1(VALU_DEP_1)
	v_fma_f64 v[70:71], v[44:45], s[12:13], v[238:239]
	v_add_f64_e32 v[70:71], v[70:71], v[106:107]
	v_fma_f64 v[106:107], v[38:39], s[20:21], -v[4:5]
	v_fma_f64 v[4:5], v[38:39], s[20:21], v[4:5]
	s_delay_alu instid0(VALU_DEP_2) | instskip(SKIP_2) | instid1(VALU_DEP_3)
	v_add_f64_e32 v[104:105], v[106:107], v[104:105]
	v_fma_f64 v[106:107], v[36:37], s[20:21], v[8:9]
	v_fma_f64 v[8:9], v[36:37], s[20:21], -v[8:9]
	v_add_f64_e32 v[102:103], v[102:103], v[104:105]
	s_delay_alu instid0(VALU_DEP_3) | instskip(SKIP_1) | instid1(VALU_DEP_1)
	v_add_f64_e32 v[70:71], v[106:107], v[70:71]
	v_fma_f64 v[104:105], v[28:29], s[16:17], v[16:17]
	v_add_f64_e32 v[70:71], v[104:105], v[70:71]
	v_fma_f64 v[104:105], v[26:27], s[2:3], -v[0:1]
	s_delay_alu instid0(VALU_DEP_2) | instskip(SKIP_1) | instid1(VALU_DEP_3)
	v_add_f64_e32 v[6:7], v[6:7], v[70:71]
	v_mul_f64_e32 v[70:71], s[42:43], v[42:43]
	v_add_f64_e32 v[102:103], v[104:105], v[102:103]
	s_delay_alu instid0(VALU_DEP_3) | instskip(NEXT) | instid1(VALU_DEP_3)
	v_add_f64_e32 v[6:7], v[10:11], v[6:7]
	v_fma_f64 v[104:105], v[22:23], s[8:9], -v[70:71]
	v_mul_f64_e32 v[10:11], s[36:37], v[32:33]
	s_delay_alu instid0(VALU_DEP_2) | instskip(NEXT) | instid1(VALU_DEP_2)
	v_add_f64_e32 v[102:103], v[104:105], v[102:103]
	v_fma_f64 v[104:105], v[134:135], s[18:19], -v[10:11]
	s_delay_alu instid0(VALU_DEP_1) | instskip(SKIP_1) | instid1(VALU_DEP_1)
	v_add_f64_e32 v[106:107], v[104:105], v[102:103]
	v_mul_f64_e32 v[102:103], s[36:37], v[144:145]
	v_fma_f64 v[104:105], v[132:133], s[18:19], v[102:103]
	s_delay_alu instid0(VALU_DEP_1) | instskip(SKIP_1) | instid1(VALU_DEP_1)
	v_add_f64_e32 v[104:105], v[104:105], v[6:7]
	v_mul_f64_e32 v[6:7], s[38:39], v[68:69]
	v_fma_f64 v[68:69], v[52:53], s[2:3], -v[6:7]
	v_fma_f64 v[6:7], v[52:53], s[2:3], v[6:7]
	s_delay_alu instid0(VALU_DEP_2) | instskip(SKIP_2) | instid1(VALU_DEP_2)
	v_add_f64_e32 v[68:69], v[68:69], v[148:149]
	v_fma_f64 v[148:149], v[54:55], s[2:3], v[74:75]
	v_fma_f64 v[74:75], v[54:55], s[2:3], -v[74:75]
	v_add_f64_e32 v[72:73], v[148:149], v[72:73]
	v_fma_f64 v[148:149], v[46:47], s[18:19], -v[66:67]
	v_fma_f64 v[66:67], v[46:47], s[18:19], v[66:67]
	s_delay_alu instid0(VALU_DEP_2) | instskip(SKIP_2) | instid1(VALU_DEP_2)
	v_add_f64_e32 v[68:69], v[148:149], v[68:69]
	v_fma_f64 v[148:149], v[44:45], s[18:19], v[64:65]
	v_fma_f64 v[64:65], v[44:45], s[18:19], -v[64:65]
	v_add_f64_e32 v[72:73], v[148:149], v[72:73]
	v_fma_f64 v[148:149], v[38:39], s[16:17], -v[62:63]
	v_fma_f64 v[62:63], v[38:39], s[16:17], v[62:63]
	s_delay_alu instid0(VALU_DEP_2) | instskip(SKIP_2) | instid1(VALU_DEP_2)
	v_add_f64_e32 v[68:69], v[148:149], v[68:69]
	v_fma_f64 v[148:149], v[36:37], s[16:17], v[60:61]
	v_fma_f64 v[60:61], v[36:37], s[16:17], -v[60:61]
	v_add_f64_e32 v[72:73], v[148:149], v[72:73]
	v_fma_f64 v[148:149], v[30:31], s[0:1], -v[58:59]
	v_fma_f64 v[58:59], v[30:31], s[0:1], v[58:59]
	s_delay_alu instid0(VALU_DEP_2) | instskip(SKIP_2) | instid1(VALU_DEP_2)
	v_add_f64_e32 v[68:69], v[148:149], v[68:69]
	v_fma_f64 v[148:149], v[28:29], s[0:1], v[56:57]
	v_fma_f64 v[56:57], v[28:29], s[0:1], -v[56:57]
	v_add_f64_e32 v[72:73], v[148:149], v[72:73]
	v_fma_f64 v[148:149], v[26:27], s[14:15], -v[50:51]
	v_fma_f64 v[50:51], v[26:27], s[14:15], v[50:51]
	s_delay_alu instid0(VALU_DEP_2) | instskip(SKIP_2) | instid1(VALU_DEP_2)
	v_add_f64_e32 v[68:69], v[148:149], v[68:69]
	v_fma_f64 v[148:149], v[24:25], s[14:15], v[48:49]
	v_fma_f64 v[48:49], v[24:25], s[14:15], -v[48:49]
	v_add_f64_e32 v[72:73], v[148:149], v[72:73]
	v_mul_f64_e32 v[148:149], s[22:23], v[42:43]
	s_delay_alu instid0(VALU_DEP_1) | instskip(NEXT) | instid1(VALU_DEP_1)
	v_fma_f64 v[42:43], v[22:23], s[20:21], -v[148:149]
	v_add_f64_e32 v[42:43], v[42:43], v[68:69]
	v_mul_f64_e32 v[68:69], s[22:23], v[40:41]
	s_delay_alu instid0(VALU_DEP_1) | instskip(NEXT) | instid1(VALU_DEP_1)
	v_fma_f64 v[40:41], v[34:35], s[20:21], v[68:69]
	v_add_f64_e32 v[40:41], v[40:41], v[72:73]
	v_mul_f64_e32 v[72:73], s[24:25], v[32:33]
	s_delay_alu instid0(VALU_DEP_1) | instskip(NEXT) | instid1(VALU_DEP_1)
	v_fma_f64 v[32:33], v[134:135], s[8:9], -v[72:73]
	v_add_f64_e32 v[80:81], v[32:33], v[42:43]
	v_fma_f64 v[32:33], v[132:133], s[8:9], v[76:77]
	v_fma_f64 v[42:43], v[54:55], s[12:13], v[120:121]
	;; [unrolled: 1-line block ×3, first 2 shown]
	s_delay_alu instid0(VALU_DEP_3) | instskip(SKIP_3) | instid1(VALU_DEP_1)
	v_add_f64_e32 v[78:79], v[32:33], v[40:41]
	scratch_load_b64 v[32:33], off, off offset:864 th:TH_LOAD_LU ; 8-byte Folded Reload
	v_fma_f64 v[40:41], v[52:53], s[12:13], -v[130:131]
	s_wait_loadcnt 0x0
	v_add_f64_e32 v[40:41], v[40:41], v[32:33]
	scratch_load_b64 v[32:33], off, off offset:856 th:TH_LOAD_LU ; 8-byte Folded Reload
	v_add_f64_e32 v[40:41], v[118:119], v[40:41]
	v_fma_f64 v[118:119], v[44:45], s[20:21], v[142:143]
	s_wait_loadcnt 0x0
	v_add_f64_e32 v[42:43], v[42:43], v[32:33]
	scratch_load_b64 v[32:33], off, off offset:848 th:TH_LOAD_LU ; 8-byte Folded Reload
	v_add_f64_e32 v[42:43], v[118:119], v[42:43]
	v_fma_f64 v[118:119], v[38:39], s[2:3], -v[154:155]
	s_delay_alu instid0(VALU_DEP_1) | instskip(SKIP_1) | instid1(VALU_DEP_1)
	v_add_f64_e32 v[40:41], v[118:119], v[40:41]
	v_fma_f64 v[118:119], v[36:37], s[2:3], v[156:157]
	v_add_f64_e32 v[42:43], v[118:119], v[42:43]
	v_fma_f64 v[118:119], v[30:31], s[14:15], -v[158:159]
	s_delay_alu instid0(VALU_DEP_1) | instskip(SKIP_1) | instid1(VALU_DEP_1)
	v_add_f64_e32 v[40:41], v[118:119], v[40:41]
	v_fma_f64 v[118:119], v[28:29], s[14:15], v[160:161]
	;; [unrolled: 5-line block ×3, first 2 shown]
	v_add_f64_e32 v[42:43], v[118:119], v[42:43]
	v_fma_f64 v[118:119], v[22:23], s[0:1], -v[166:167]
	s_delay_alu instid0(VALU_DEP_1)
	v_add_f64_e32 v[40:41], v[118:119], v[40:41]
	v_fma_f64 v[118:119], v[34:35], s[0:1], v[168:169]
	s_wait_loadcnt 0x0
	v_add_f64_e32 v[6:7], v[6:7], v[32:33]
	scratch_load_b64 v[32:33], off, off offset:840 th:TH_LOAD_LU ; 8-byte Folded Reload
	v_add_f64_e32 v[118:119], v[118:119], v[42:43]
	v_fma_f64 v[42:43], v[134:135], s[16:17], -v[170:171]
	v_add_f64_e32 v[6:7], v[66:67], v[6:7]
	s_delay_alu instid0(VALU_DEP_2) | instskip(NEXT) | instid1(VALU_DEP_4)
	v_add_f64_e32 v[42:43], v[42:43], v[40:41]
	v_add_f64_e32 v[40:41], v[120:121], v[118:119]
	s_delay_alu instid0(VALU_DEP_3) | instskip(NEXT) | instid1(VALU_DEP_1)
	v_add_f64_e32 v[6:7], v[62:63], v[6:7]
	v_add_f64_e32 v[6:7], v[58:59], v[6:7]
	s_delay_alu instid0(VALU_DEP_1) | instskip(SKIP_1) | instid1(VALU_DEP_1)
	v_add_f64_e32 v[6:7], v[50:51], v[6:7]
	v_fma_f64 v[50:51], v[22:23], s[20:21], v[148:149]
	v_add_f64_e32 v[6:7], v[50:51], v[6:7]
	v_fma_f64 v[50:51], v[34:35], s[20:21], -v[68:69]
	s_wait_loadcnt 0x0
	v_add_f64_e32 v[74:75], v[74:75], v[32:33]
	s_delay_alu instid0(VALU_DEP_1) | instskip(NEXT) | instid1(VALU_DEP_1)
	v_add_f64_e32 v[64:65], v[64:65], v[74:75]
	v_add_f64_e32 v[60:61], v[60:61], v[64:65]
	s_delay_alu instid0(VALU_DEP_1) | instskip(NEXT) | instid1(VALU_DEP_1)
	v_add_f64_e32 v[56:57], v[56:57], v[60:61]
	v_add_f64_e32 v[48:49], v[48:49], v[56:57]
	v_fma_f64 v[56:57], v[132:133], s[8:9], -v[76:77]
	s_delay_alu instid0(VALU_DEP_2) | instskip(SKIP_1) | instid1(VALU_DEP_2)
	v_add_f64_e32 v[48:49], v[50:51], v[48:49]
	v_fma_f64 v[50:51], v[134:135], s[8:9], v[72:73]
	v_add_f64_e32 v[48:49], v[56:57], v[48:49]
	s_delay_alu instid0(VALU_DEP_2)
	v_add_f64_e32 v[50:51], v[50:51], v[6:7]
	v_fma_f64 v[6:7], v[52:53], s[0:1], v[20:21]
	scratch_load_b64 v[20:21], off, off offset:188 th:TH_LOAD_LU ; 8-byte Folded Reload
	v_fma_f64 v[56:57], v[46:47], s[12:13], v[112:113]
	s_wait_loadcnt 0x0
	v_add_f64_e32 v[6:7], v[6:7], v[20:21]
	s_delay_alu instid0(VALU_DEP_1) | instskip(SKIP_2) | instid1(VALU_DEP_3)
	v_add_f64_e32 v[6:7], v[56:57], v[6:7]
	v_fma_f64 v[56:57], v[44:45], s[12:13], -v[238:239]
	v_dual_mov_b32 v238, v237 :: v_dual_mov_b32 v237, v88
	v_add_f64_e32 v[4:5], v[4:5], v[6:7]
	v_fma_f64 v[6:7], v[30:31], s[16:17], v[100:101]
	s_delay_alu instid0(VALU_DEP_1)
	v_add_f64_e32 v[4:5], v[6:7], v[4:5]
	v_fma_f64 v[6:7], v[26:27], s[2:3], v[0:1]
	scratch_load_b64 v[0:1], off, off offset:172 th:TH_LOAD_LU ; 8-byte Folded Reload
	v_add_f64_e32 v[4:5], v[6:7], v[4:5]
	v_fma_f64 v[6:7], v[54:55], s[0:1], -v[152:153]
	s_wait_loadcnt 0x0
	s_delay_alu instid0(VALU_DEP_1) | instskip(SKIP_1) | instid1(VALU_DEP_2)
	v_add_f64_e32 v[6:7], v[6:7], v[0:1]
	v_fma_f64 v[0:1], v[34:35], s[8:9], -v[18:19]
	v_add_f64_e32 v[6:7], v[56:57], v[6:7]
	s_delay_alu instid0(VALU_DEP_1) | instskip(SKIP_1) | instid1(VALU_DEP_1)
	v_add_f64_e32 v[6:7], v[8:9], v[6:7]
	v_fma_f64 v[8:9], v[28:29], s[16:17], -v[16:17]
	v_add_f64_e32 v[6:7], v[8:9], v[6:7]
	scratch_load_b64 v[8:9], off, off offset:44 th:TH_LOAD_LU ; 8-byte Folded Reload
	v_add_f64_e32 v[2:3], v[2:3], v[6:7]
	v_fma_f64 v[6:7], v[22:23], s[8:9], v[70:71]
	s_delay_alu instid0(VALU_DEP_2) | instskip(NEXT) | instid1(VALU_DEP_2)
	v_add_f64_e32 v[0:1], v[0:1], v[2:3]
	v_add_f64_e32 v[4:5], v[6:7], v[4:5]
	v_fma_f64 v[2:3], v[134:135], s[18:19], v[10:11]
	v_fma_f64 v[6:7], v[132:133], s[18:19], -v[102:103]
	v_dual_mov_b32 v103, v15 :: v_dual_mov_b32 v102, v14
	v_dual_mov_b32 v101, v13 :: v_dual_mov_b32 v100, v12
	s_delay_alu instid0(VALU_DEP_4)
	v_add_f64_e32 v[58:59], v[2:3], v[4:5]
	s_clause 0x1
	scratch_load_b64 v[2:3], off, off offset:156 th:TH_LOAD_LU
	scratch_load_b64 v[4:5], off, off offset:140 th:TH_LOAD_LU
	v_add_f64_e32 v[56:57], v[6:7], v[0:1]
	v_fma_f64 v[0:1], v[52:53], s[8:9], v[116:117]
	v_fma_f64 v[6:7], v[132:133], s[2:3], -v[184:185]
	s_wait_loadcnt 0x1
	s_delay_alu instid0(VALU_DEP_2) | instskip(SKIP_2) | instid1(VALU_DEP_1)
	v_add_f64_e32 v[0:1], v[0:1], v[2:3]
	v_fma_f64 v[2:3], v[54:55], s[8:9], -v[110:111]
	s_wait_loadcnt 0x0
	v_add_f64_e32 v[2:3], v[2:3], v[4:5]
	v_fma_f64 v[4:5], v[46:47], s[0:1], v[122:123]
	s_delay_alu instid0(VALU_DEP_1) | instskip(SKIP_1) | instid1(VALU_DEP_1)
	v_add_f64_e32 v[0:1], v[4:5], v[0:1]
	v_fma_f64 v[4:5], v[44:45], s[0:1], -v[136:137]
	v_add_f64_e32 v[2:3], v[4:5], v[2:3]
	v_fma_f64 v[4:5], v[38:39], s[12:13], v[216:217]
	scratch_load_b32 v216, off, off offset:8 ; 4-byte Folded Reload
	v_add_f64_e32 v[0:1], v[4:5], v[0:1]
	v_fma_f64 v[4:5], v[36:37], s[12:13], -v[218:219]
	v_dual_mov_b32 v219, v220 :: v_dual_mov_b32 v220, v98
	v_mov_b32_e32 v218, v93
	s_delay_alu instid0(VALU_DEP_3) | instskip(SKIP_1) | instid1(VALU_DEP_1)
	v_add_f64_e32 v[2:3], v[4:5], v[2:3]
	v_fma_f64 v[4:5], v[30:31], s[18:19], v[86:87]
	v_add_f64_e32 v[0:1], v[4:5], v[0:1]
	v_fma_f64 v[4:5], v[28:29], s[18:19], -v[114:115]
	s_delay_alu instid0(VALU_DEP_1) | instskip(SKIP_1) | instid1(VALU_DEP_1)
	v_add_f64_e32 v[2:3], v[4:5], v[2:3]
	v_fma_f64 v[4:5], v[26:27], s[20:21], v[108:109]
	v_add_f64_e32 v[0:1], v[4:5], v[0:1]
	v_fma_f64 v[4:5], v[24:25], s[20:21], -v[84:85]
	s_delay_alu instid0(VALU_DEP_1) | instskip(SKIP_1) | instid1(VALU_DEP_1)
	v_add_f64_e32 v[2:3], v[4:5], v[2:3]
	v_fma_f64 v[4:5], v[22:23], s[14:15], v[91:92]
	v_add_f64_e32 v[0:1], v[4:5], v[0:1]
	v_fma_f64 v[4:5], v[34:35], s[14:15], -v[82:83]
	s_delay_alu instid0(VALU_DEP_1) | instskip(SKIP_1) | instid1(VALU_DEP_2)
	v_add_f64_e32 v[2:3], v[4:5], v[2:3]
	v_fma_f64 v[4:5], v[134:135], s[2:3], v[89:90]
	v_add_f64_e32 v[60:61], v[6:7], v[2:3]
	scratch_load_b64 v[2:3], off, off offset:108 th:TH_LOAD_LU ; 8-byte Folded Reload
	v_add_f64_e32 v[62:63], v[4:5], v[0:1]
	scratch_load_b64 v[4:5], off, off offset:92 th:TH_LOAD_LU ; 8-byte Folded Reload
	v_fma_f64 v[0:1], v[52:53], s[14:15], v[150:151]
	v_fma_f64 v[6:7], v[132:133], s[20:21], -v[174:175]
	s_wait_loadcnt 0x1
	s_delay_alu instid0(VALU_DEP_2) | instskip(SKIP_2) | instid1(VALU_DEP_1)
	v_add_f64_e32 v[0:1], v[0:1], v[2:3]
	v_fma_f64 v[2:3], v[54:55], s[14:15], -v[244:245]
	s_wait_loadcnt 0x0
	v_add_f64_e32 v[2:3], v[2:3], v[4:5]
	v_fma_f64 v[4:5], v[46:47], s[8:9], v[246:247]
	s_delay_alu instid0(VALU_DEP_1) | instskip(SKIP_1) | instid1(VALU_DEP_1)
	v_add_f64_e32 v[0:1], v[4:5], v[0:1]
	v_fma_f64 v[4:5], v[44:45], s[8:9], -v[248:249]
	v_add_f64_e32 v[2:3], v[4:5], v[2:3]
	v_fma_f64 v[4:5], v[38:39], s[0:1], v[250:251]
	s_delay_alu instid0(VALU_DEP_1) | instskip(SKIP_1) | instid1(VALU_DEP_1)
	v_add_f64_e32 v[0:1], v[4:5], v[0:1]
	v_fma_f64 v[4:5], v[36:37], s[0:1], -v[252:253]
	;; [unrolled: 5-line block ×5, first 2 shown]
	v_add_f64_e32 v[2:3], v[4:5], v[2:3]
	v_fma_f64 v[4:5], v[134:135], s[20:21], v[128:129]
	s_delay_alu instid0(VALU_DEP_2) | instskip(NEXT) | instid1(VALU_DEP_2)
	v_add_f64_e32 v[64:65], v[6:7], v[2:3]
	v_add_f64_e32 v[66:67], v[4:5], v[0:1]
	s_clause 0x3
	scratch_load_b64 v[0:1], off, off offset:872 th:TH_LOAD_LU
	scratch_load_b64 v[6:7], off, off offset:76 th:TH_LOAD_LU
	;; [unrolled: 1-line block ×4, first 2 shown]
	s_wait_loadcnt 0x3
	v_fma_f64 v[0:1], v[52:53], s[18:19], v[0:1]
	s_wait_loadcnt 0x2
	s_delay_alu instid0(VALU_DEP_1)
	v_add_f64_e32 v[0:1], v[0:1], v[6:7]
	scratch_load_b64 v[6:7], off, off offset:896 th:TH_LOAD_LU ; 8-byte Folded Reload
	s_wait_loadcnt 0x2
	v_fma_f64 v[2:3], v[54:55], s[18:19], -v[2:3]
	s_wait_loadcnt 0x1
	v_fma_f64 v[4:5], v[46:47], s[16:17], v[4:5]
	s_delay_alu instid0(VALU_DEP_2)
	v_add_f64_e32 v[2:3], v[2:3], v[8:9]
	scratch_load_b64 v[8:9], off, off offset:904 th:TH_LOAD_LU ; 8-byte Folded Reload
	v_add_f64_e32 v[0:1], v[4:5], v[0:1]
	scratch_load_b64 v[4:5], off, off offset:912 th:TH_LOAD_LU ; 8-byte Folded Reload
	s_wait_loadcnt 0x2
	v_fma_f64 v[6:7], v[44:45], s[16:17], -v[6:7]
	s_delay_alu instid0(VALU_DEP_1)
	v_add_f64_e32 v[2:3], v[6:7], v[2:3]
	scratch_load_b64 v[6:7], off, off offset:920 th:TH_LOAD_LU ; 8-byte Folded Reload
	s_wait_loadcnt 0x2
	v_fma_f64 v[8:9], v[38:39], s[14:15], v[8:9]
	s_wait_loadcnt 0x1
	v_fma_f64 v[4:5], v[36:37], s[14:15], -v[4:5]
	s_delay_alu instid0(VALU_DEP_2)
	v_add_f64_e32 v[0:1], v[8:9], v[0:1]
	scratch_load_b64 v[8:9], off, off offset:928 th:TH_LOAD_LU ; 8-byte Folded Reload
	v_add_f64_e32 v[2:3], v[4:5], v[2:3]
	scratch_load_b64 v[4:5], off, off offset:936 th:TH_LOAD_LU ; 8-byte Folded Reload
	s_wait_loadcnt 0x2
	v_fma_f64 v[6:7], v[30:31], s[12:13], v[6:7]
	s_delay_alu instid0(VALU_DEP_1)
	v_add_f64_e32 v[0:1], v[6:7], v[0:1]
	scratch_load_b64 v[6:7], off, off offset:944 th:TH_LOAD_LU ; 8-byte Folded Reload
	s_wait_loadcnt 0x2
	v_fma_f64 v[8:9], v[28:29], s[12:13], -v[8:9]
	s_wait_loadcnt 0x1
	v_fma_f64 v[4:5], v[26:27], s[8:9], v[4:5]
	s_delay_alu instid0(VALU_DEP_2) | instskip(SKIP_1) | instid1(VALU_DEP_3)
	v_add_f64_e32 v[2:3], v[8:9], v[2:3]
	v_fma_f64 v[8:9], v[22:23], s[2:3], v[194:195]
	v_add_f64_e32 v[0:1], v[4:5], v[0:1]
	v_fma_f64 v[4:5], v[34:35], s[2:3], -v[212:213]
	s_delay_alu instid0(VALU_DEP_2) | instskip(SKIP_3) | instid1(VALU_DEP_1)
	v_add_f64_e32 v[0:1], v[8:9], v[0:1]
	v_fma_f64 v[8:9], v[132:133], s[0:1], -v[192:193]
	s_wait_loadcnt 0x0
	v_fma_f64 v[6:7], v[24:25], s[8:9], -v[6:7]
	v_add_f64_e32 v[2:3], v[6:7], v[2:3]
	v_fma_f64 v[6:7], v[134:135], s[0:1], v[214:215]
	scratch_load_b128 v[132:135], off, off offset:808 ; 16-byte Folded Reload
	v_add_f64_e32 v[2:3], v[4:5], v[2:3]
	v_add_f64_e32 v[18:19], v[6:7], v[0:1]
	s_clause 0x1
	scratch_load_b32 v0, off, off offset:788 th:TH_LOAD_LU
	scratch_load_b32 v1, off, off offset:952 th:TH_LOAD_LU
	v_add_f64_e32 v[16:17], v[8:9], v[2:3]
	s_wait_loadcnt 0x0
	v_lshl_add_u32 v0, v0, 4, v1
	scratch_load_b128 v[1:4], off, off offset:12 th:TH_LOAD_LU ; 16-byte Folded Reload
	s_wait_loadcnt 0x0
	ds_store_b128 v0, v[1:4]
	ds_store_b128 v0, v[240:243] offset:16
	ds_store_b128 v0, v[186:189] offset:32
	;; [unrolled: 1-line block ×6, first 2 shown]
	scratch_load_b128 v[1:4], off, off offset:204 th:TH_LOAD_LU ; 16-byte Folded Reload
	s_wait_loadcnt 0x0
	ds_store_b128 v0, v[1:4] offset:112
	scratch_load_b128 v[1:4], off, off offset:60 th:TH_LOAD_LU ; 16-byte Folded Reload
	s_wait_loadcnt 0x0
	ds_store_b128 v0, v[1:4] offset:128
	;; [unrolled: 3-line block ×4, first 2 shown]
	ds_store_b128 v0, v[180:183] offset:176
	ds_store_b128 v0, v[48:51] offset:192
	;; [unrolled: 1-line block ×6, first 2 shown]
.LBB0_13:
	s_or_b32 exec_lo, exec_lo, s33
	global_wb scope:SCOPE_SE
	s_wait_storecnt_dscnt 0x0
	s_barrier_signal -1
	s_barrier_wait -1
	global_inv scope:SCOPE_SE
	ds_load_b128 v[0:3], v99 offset:1904
	scratch_load_b128 v[24:27], off, off offset:548 th:TH_LOAD_LU ; 16-byte Folded Reload
	s_mov_b32 s0, 0xe8584caa
	s_mov_b32 s1, 0xbfebb67a
	;; [unrolled: 1-line block ×3, first 2 shown]
	s_wait_alu 0xfffe
	s_mov_b32 s2, s0
	s_mov_b32 s14, 0xe976ee23
	;; [unrolled: 1-line block ×13, first 2 shown]
	s_wait_alu 0xfffe
	s_mov_b32 s24, s18
	s_mov_b32 s22, s12
	s_wait_dscnt 0x0
	v_mul_f64_e32 v[4:5], v[206:207], v[2:3]
	s_mov_b32 s16, 0x37c3f68c
	s_mov_b32 s17, 0xbfdc38aa
	s_delay_alu instid0(VALU_DEP_1) | instskip(SKIP_1) | instid1(VALU_DEP_1)
	v_fma_f64 v[4:5], v[204:205], v[0:1], v[4:5]
	v_mul_f64_e32 v[0:1], v[206:207], v[0:1]
	v_fma_f64 v[6:7], v[204:205], v[2:3], -v[0:1]
	ds_load_b128 v[0:3], v99 offset:2176
	s_wait_dscnt 0x0
	v_mul_f64_e32 v[8:9], v[206:207], v[2:3]
	s_delay_alu instid0(VALU_DEP_1) | instskip(SKIP_1) | instid1(VALU_DEP_1)
	v_fma_f64 v[16:17], v[204:205], v[0:1], v[8:9]
	v_mul_f64_e32 v[0:1], v[206:207], v[0:1]
	v_fma_f64 v[18:19], v[204:205], v[2:3], -v[0:1]
	ds_load_b128 v[0:3], v99 offset:3808
	s_wait_dscnt 0x0
	v_mul_f64_e32 v[8:9], v[102:103], v[2:3]
	s_delay_alu instid0(VALU_DEP_1) | instskip(SKIP_1) | instid1(VALU_DEP_1)
	v_fma_f64 v[8:9], v[100:101], v[0:1], v[8:9]
	v_mul_f64_e32 v[0:1], v[102:103], v[0:1]
	v_fma_f64 v[10:11], v[100:101], v[2:3], -v[0:1]
	ds_load_b128 v[0:3], v99 offset:4080
	s_wait_dscnt 0x0
	v_mul_f64_e32 v[12:13], v[102:103], v[2:3]
	v_add_f64_e32 v[14:15], v[6:7], v[10:11]
	s_delay_alu instid0(VALU_DEP_2) | instskip(SKIP_1) | instid1(VALU_DEP_1)
	v_fma_f64 v[20:21], v[100:101], v[0:1], v[12:13]
	v_mul_f64_e32 v[0:1], v[102:103], v[0:1]
	v_fma_f64 v[22:23], v[100:101], v[2:3], -v[0:1]
	ds_load_b128 v[0:3], v99 offset:2448
	s_wait_dscnt 0x0
	v_mul_f64_e32 v[12:13], v[210:211], v[2:3]
	s_delay_alu instid0(VALU_DEP_1) | instskip(SKIP_1) | instid1(VALU_DEP_1)
	v_fma_f64 v[28:29], v[208:209], v[0:1], v[12:13]
	v_mul_f64_e32 v[0:1], v[210:211], v[0:1]
	v_fma_f64 v[30:31], v[208:209], v[2:3], -v[0:1]
	ds_load_b128 v[0:3], v99 offset:4352
	s_wait_dscnt 0x0
	v_mul_f64_e32 v[12:13], v[126:127], v[2:3]
	s_delay_alu instid0(VALU_DEP_1) | instskip(SKIP_1) | instid1(VALU_DEP_2)
	v_fma_f64 v[32:33], v[124:125], v[0:1], v[12:13]
	v_mul_f64_e32 v[0:1], v[126:127], v[0:1]
	v_add_f64_e32 v[36:37], v[28:29], v[32:33]
	s_delay_alu instid0(VALU_DEP_2) | instskip(SKIP_4) | instid1(VALU_DEP_2)
	v_fma_f64 v[34:35], v[124:125], v[2:3], -v[0:1]
	ds_load_b128 v[0:3], v99 offset:2720
	s_wait_dscnt 0x0
	v_mul_f64_e32 v[12:13], v[198:199], v[2:3]
	v_add_f64_e32 v[38:39], v[30:31], v[34:35]
	v_fma_f64 v[52:53], v[196:197], v[0:1], v[12:13]
	v_mul_f64_e32 v[0:1], v[198:199], v[0:1]
	s_delay_alu instid0(VALU_DEP_1) | instskip(SKIP_3) | instid1(VALU_DEP_1)
	v_fma_f64 v[54:55], v[196:197], v[2:3], -v[0:1]
	ds_load_b128 v[0:3], v99 offset:4624
	s_wait_dscnt 0x0
	v_mul_f64_e32 v[12:13], v[231:232], v[2:3]
	v_fma_f64 v[56:57], v[229:230], v[0:1], v[12:13]
	v_mul_f64_e32 v[0:1], v[231:232], v[0:1]
	s_delay_alu instid0(VALU_DEP_1) | instskip(SKIP_3) | instid1(VALU_DEP_1)
	v_fma_f64 v[58:59], v[229:230], v[2:3], -v[0:1]
	ds_load_b128 v[0:3], v99 offset:2992
	s_wait_dscnt 0x0
	v_mul_f64_e32 v[12:13], v[235:236], v[2:3]
	;; [unrolled: 7-line block ×6, first 2 shown]
	v_fma_f64 v[76:77], v[132:133], v[0:1], v[12:13]
	v_mul_f64_e32 v[0:1], v[134:135], v[0:1]
	s_delay_alu instid0(VALU_DEP_1) | instskip(SKIP_3) | instid1(VALU_DEP_1)
	v_fma_f64 v[78:79], v[132:133], v[2:3], -v[0:1]
	ds_load_b128 v[0:3], v99 offset:5440
	s_wait_loadcnt_dscnt 0x0
	v_mul_f64_e32 v[12:13], v[26:27], v[2:3]
	v_fma_f64 v[80:81], v[24:25], v[0:1], v[12:13]
	v_mul_f64_e32 v[0:1], v[26:27], v[0:1]
	v_add_f64_e32 v[12:13], v[4:5], v[8:9]
	v_add_f64_e32 v[26:27], v[18:19], v[22:23]
	s_delay_alu instid0(VALU_DEP_3)
	v_fma_f64 v[82:83], v[24:25], v[2:3], -v[0:1]
	ds_load_b128 v[0:3], v99
	v_add_f64_e32 v[24:25], v[16:17], v[20:21]
	s_wait_dscnt 0x0
	v_fma_f64 v[14:15], v[14:15], -0.5, v[2:3]
	v_add_f64_e32 v[2:3], v[2:3], v[6:7]
	v_fma_f64 v[12:13], v[12:13], -0.5, v[0:1]
	v_add_f64_e32 v[0:1], v[0:1], v[4:5]
	v_add_f64_e64 v[6:7], v[6:7], -v[10:11]
	s_delay_alu instid0(VALU_DEP_4) | instskip(SKIP_1) | instid1(VALU_DEP_4)
	v_add_f64_e32 v[2:3], v[2:3], v[10:11]
	v_add_f64_e64 v[10:11], v[4:5], -v[8:9]
	v_add_f64_e32 v[0:1], v[0:1], v[8:9]
	s_delay_alu instid0(VALU_DEP_4) | instskip(SKIP_1) | instid1(VALU_DEP_4)
	v_fma_f64 v[4:5], v[6:7], s[0:1], v[12:13]
	v_fma_f64 v[8:9], v[6:7], s[2:3], v[12:13]
	v_fma_f64 v[6:7], v[10:11], s[2:3], v[14:15]
	v_fma_f64 v[10:11], v[10:11], s[0:1], v[14:15]
	ds_load_b128 v[12:15], v99 offset:272
	s_wait_dscnt 0x0
	v_fma_f64 v[26:27], v[26:27], -0.5, v[14:15]
	v_add_f64_e32 v[14:15], v[14:15], v[18:19]
	v_fma_f64 v[24:25], v[24:25], -0.5, v[12:13]
	v_add_f64_e32 v[12:13], v[12:13], v[16:17]
	v_add_f64_e64 v[18:19], v[18:19], -v[22:23]
	s_delay_alu instid0(VALU_DEP_4) | instskip(SKIP_1) | instid1(VALU_DEP_4)
	v_add_f64_e32 v[14:15], v[14:15], v[22:23]
	v_add_f64_e64 v[22:23], v[16:17], -v[20:21]
	v_add_f64_e32 v[12:13], v[12:13], v[20:21]
	s_delay_alu instid0(VALU_DEP_4) | instskip(SKIP_1) | instid1(VALU_DEP_4)
	v_fma_f64 v[16:17], v[18:19], s[0:1], v[24:25]
	v_fma_f64 v[20:21], v[18:19], s[2:3], v[24:25]
	v_fma_f64 v[18:19], v[22:23], s[2:3], v[26:27]
	v_fma_f64 v[22:23], v[22:23], s[0:1], v[26:27]
	ds_load_b128 v[24:27], v99 offset:544
	;; [unrolled: 16-line block ×3, first 2 shown]
	ds_load_b128 v[40:43], v99 offset:816
	ds_load_b128 v[44:47], v99 offset:1088
	;; [unrolled: 1-line block ×3, first 2 shown]
	global_wb scope:SCOPE_SE
	s_wait_dscnt 0x0
	s_barrier_signal -1
	s_barrier_wait -1
	global_inv scope:SCOPE_SE
	ds_store_b128 v99, v[0:3]
	ds_store_b128 v99, v[12:15] offset:816
	ds_store_b128 v99, v[4:7] offset:272
	;; [unrolled: 1-line block ×8, first 2 shown]
	v_add_f64_e32 v[0:1], v[52:53], v[56:57]
	v_add_f64_e32 v[4:5], v[40:41], v[52:53]
	v_add_f64_e64 v[8:9], v[54:55], -v[58:59]
	v_add_f64_e64 v[12:13], v[52:53], -v[56:57]
	s_delay_alu instid0(VALU_DEP_4) | instskip(SKIP_1) | instid1(VALU_DEP_1)
	v_fma_f64 v[6:7], v[0:1], -0.5, v[40:41]
	v_add_f64_e32 v[0:1], v[54:55], v[58:59]
	v_fma_f64 v[10:11], v[0:1], -0.5, v[42:43]
	v_add_f64_e32 v[0:1], v[42:43], v[54:55]
	s_delay_alu instid0(VALU_DEP_1)
	v_add_f64_e32 v[2:3], v[0:1], v[58:59]
	v_add_f64_e32 v[0:1], v[4:5], v[56:57]
	v_fma_f64 v[4:5], v[8:9], s[0:1], v[6:7]
	v_fma_f64 v[8:9], v[8:9], s[2:3], v[6:7]
	v_fma_f64 v[6:7], v[12:13], s[2:3], v[10:11]
	v_fma_f64 v[10:11], v[12:13], s[0:1], v[10:11]
	ds_store_b128 v220, v[0:3] offset:2448
	ds_store_b128 v220, v[4:7] offset:2720
	ds_store_b128 v220, v[8:11] offset:2992
	v_add_f64_e32 v[0:1], v[60:61], v[64:65]
	v_add_f64_e32 v[4:5], v[44:45], v[60:61]
	v_add_f64_e64 v[8:9], v[62:63], -v[66:67]
	v_add_f64_e64 v[12:13], v[60:61], -v[64:65]
	s_delay_alu instid0(VALU_DEP_4) | instskip(SKIP_1) | instid1(VALU_DEP_1)
	v_fma_f64 v[6:7], v[0:1], -0.5, v[44:45]
	v_add_f64_e32 v[0:1], v[62:63], v[66:67]
	v_fma_f64 v[10:11], v[0:1], -0.5, v[46:47]
	v_add_f64_e32 v[0:1], v[46:47], v[62:63]
	s_delay_alu instid0(VALU_DEP_1)
	v_add_f64_e32 v[2:3], v[0:1], v[66:67]
	v_add_f64_e32 v[0:1], v[4:5], v[64:65]
	v_fma_f64 v[4:5], v[8:9], s[0:1], v[6:7]
	v_fma_f64 v[8:9], v[8:9], s[2:3], v[6:7]
	v_fma_f64 v[6:7], v[12:13], s[2:3], v[10:11]
	v_fma_f64 v[10:11], v[12:13], s[0:1], v[10:11]
	ds_store_b128 v219, v[0:3] offset:3264
	ds_store_b128 v219, v[4:7] offset:3536
	ds_store_b128 v219, v[8:11] offset:3808
	;; [unrolled: 19-line block ×4, first 2 shown]
	global_wb scope:SCOPE_SE
	s_wait_dscnt 0x0
	s_barrier_signal -1
	s_barrier_wait -1
	global_inv scope:SCOPE_SE
	s_clause 0x5
	scratch_load_b128 v[6:9], off, off offset:500 th:TH_LOAD_LU
	scratch_load_b128 v[76:79], off, off offset:532 th:TH_LOAD_LU
	;; [unrolled: 1-line block ×6, first 2 shown]
	ds_load_b128 v[0:3], v99 offset:816
	s_mov_b32 s2, 0x429ad128
	s_mov_b32 s3, 0xbfebfeb5
	;; [unrolled: 1-line block ×4, first 2 shown]
	s_clause 0x2
	scratch_load_b128 v[40:43], off, off offset:692 th:TH_LOAD_LU
	scratch_load_b128 v[36:39], off, off offset:676 th:TH_LOAD_LU
	;; [unrolled: 1-line block ×3, first 2 shown]
	s_wait_loadcnt_dscnt 0x800
	v_mul_f64_e32 v[4:5], v[8:9], v[2:3]
	s_delay_alu instid0(VALU_DEP_1) | instskip(SKIP_1) | instid1(VALU_DEP_1)
	v_fma_f64 v[4:5], v[6:7], v[0:1], v[4:5]
	v_mul_f64_e32 v[0:1], v[8:9], v[0:1]
	v_fma_f64 v[6:7], v[6:7], v[2:3], -v[0:1]
	ds_load_b128 v[0:3], v99 offset:1632
	s_wait_loadcnt_dscnt 0x600
	v_mul_f64_e32 v[8:9], v[12:13], v[2:3]
	s_delay_alu instid0(VALU_DEP_1) | instskip(SKIP_1) | instid1(VALU_DEP_1)
	v_fma_f64 v[8:9], v[10:11], v[0:1], v[8:9]
	v_mul_f64_e32 v[0:1], v[12:13], v[0:1]
	v_fma_f64 v[10:11], v[10:11], v[2:3], -v[0:1]
	ds_load_b128 v[0:3], v99 offset:4080
	;; [unrolled: 7-line block ×4, first 2 shown]
	s_wait_loadcnt_dscnt 0x300
	v_mul_f64_e32 v[20:21], v[24:25], v[2:3]
	s_delay_alu instid0(VALU_DEP_1) | instskip(SKIP_1) | instid1(VALU_DEP_1)
	v_fma_f64 v[52:53], v[22:23], v[0:1], v[20:21]
	v_mul_f64_e32 v[0:1], v[24:25], v[0:1]
	v_fma_f64 v[54:55], v[22:23], v[2:3], -v[0:1]
	scratch_load_b128 v[22:25], off, off offset:612 th:TH_LOAD_LU ; 16-byte Folded Reload
	ds_load_b128 v[0:3], v99 offset:1904
	s_wait_loadcnt_dscnt 0x0
	v_mul_f64_e32 v[20:21], v[24:25], v[2:3]
	s_delay_alu instid0(VALU_DEP_1) | instskip(SKIP_1) | instid1(VALU_DEP_1)
	v_fma_f64 v[56:57], v[22:23], v[0:1], v[20:21]
	v_mul_f64_e32 v[0:1], v[24:25], v[0:1]
	v_fma_f64 v[58:59], v[22:23], v[2:3], -v[0:1]
	scratch_load_b128 v[22:25], off, off offset:724 th:TH_LOAD_LU ; 16-byte Folded Reload
	ds_load_b128 v[0:3], v99 offset:5168
	;; [unrolled: 8-line block ×3, first 2 shown]
	v_add_f64_e32 v[84:85], v[54:55], v[62:63]
	v_add_f64_e64 v[62:63], v[54:55], -v[62:63]
	s_wait_loadcnt_dscnt 0x0
	v_mul_f64_e32 v[20:21], v[24:25], v[2:3]
	s_delay_alu instid0(VALU_DEP_1)
	v_fma_f64 v[64:65], v[22:23], v[0:1], v[20:21]
	v_mul_f64_e32 v[0:1], v[24:25], v[0:1]
	scratch_load_b128 v[24:27], off, off offset:792 th:TH_LOAD_LU ; 16-byte Folded Reload
	v_fma_f64 v[66:67], v[22:23], v[2:3], -v[0:1]
	ds_load_b128 v[0:3], v99 offset:2448
	v_add_f64_e32 v[86:87], v[58:59], v[66:67]
	v_add_f64_e64 v[58:59], v[58:59], -v[66:67]
	s_delay_alu instid0(VALU_DEP_1) | instskip(SKIP_2) | instid1(VALU_DEP_1)
	v_add_f64_e64 v[92:93], v[58:59], -v[62:63]
	s_wait_loadcnt_dscnt 0x0
	v_mul_f64_e32 v[20:21], v[26:27], v[2:3]
	v_fma_f64 v[22:23], v[24:25], v[0:1], v[20:21]
	v_mul_f64_e32 v[0:1], v[26:27], v[0:1]
	scratch_load_b128 v[26:29], off, off offset:660 th:TH_LOAD_LU ; 16-byte Folded Reload
	v_fma_f64 v[20:21], v[24:25], v[2:3], -v[0:1]
	ds_load_b128 v[0:3], v99 offset:1360
	s_wait_loadcnt_dscnt 0x0
	v_mul_f64_e32 v[24:25], v[28:29], v[2:3]
	s_delay_alu instid0(VALU_DEP_1) | instskip(SKIP_1) | instid1(VALU_DEP_1)
	v_fma_f64 v[30:31], v[26:27], v[0:1], v[24:25]
	v_mul_f64_e32 v[0:1], v[28:29], v[0:1]
	v_fma_f64 v[28:29], v[26:27], v[2:3], -v[0:1]
	ds_load_b128 v[0:3], v99 offset:2176
	s_wait_dscnt 0x0
	v_mul_f64_e32 v[24:25], v[38:39], v[2:3]
	s_delay_alu instid0(VALU_DEP_1) | instskip(SKIP_1) | instid1(VALU_DEP_1)
	v_fma_f64 v[34:35], v[36:37], v[0:1], v[24:25]
	v_mul_f64_e32 v[0:1], v[38:39], v[0:1]
	v_fma_f64 v[32:33], v[36:37], v[2:3], -v[0:1]
	ds_load_b128 v[0:3], v99 offset:5440
	s_wait_dscnt 0x0
	;; [unrolled: 7-line block ×3, first 2 shown]
	v_mul_f64_e32 v[24:25], v[46:47], v[2:3]
	s_delay_alu instid0(VALU_DEP_1) | instskip(SKIP_1) | instid1(VALU_DEP_1)
	v_fma_f64 v[42:43], v[44:45], v[0:1], v[24:25]
	v_mul_f64_e32 v[0:1], v[46:47], v[0:1]
	v_fma_f64 v[40:41], v[44:45], v[2:3], -v[0:1]
	scratch_load_b128 v[44:47], off, off offset:740 th:TH_LOAD_LU ; 16-byte Folded Reload
	ds_load_b128 v[0:3], v99 offset:3264
	s_wait_loadcnt_dscnt 0x0
	v_mul_f64_e32 v[24:25], v[46:47], v[2:3]
	s_delay_alu instid0(VALU_DEP_1)
	v_fma_f64 v[26:27], v[44:45], v[0:1], v[24:25]
	v_mul_f64_e32 v[0:1], v[46:47], v[0:1]
	scratch_load_b128 v[46:49], off, off offset:564 th:TH_LOAD_LU ; 16-byte Folded Reload
	v_fma_f64 v[24:25], v[44:45], v[2:3], -v[0:1]
	ds_load_b128 v[0:3], v99 offset:2720
	s_wait_loadcnt_dscnt 0x0
	v_mul_f64_e32 v[44:45], v[48:49], v[2:3]
	s_delay_alu instid0(VALU_DEP_1) | instskip(SKIP_1) | instid1(VALU_DEP_1)
	v_fma_f64 v[68:69], v[46:47], v[0:1], v[44:45]
	v_mul_f64_e32 v[0:1], v[48:49], v[0:1]
	v_fma_f64 v[70:71], v[46:47], v[2:3], -v[0:1]
	scratch_load_b128 v[46:49], off, off offset:580 th:TH_LOAD_LU ; 16-byte Folded Reload
	ds_load_b128 v[0:3], v99 offset:3536
	s_wait_loadcnt_dscnt 0x0
	v_mul_f64_e32 v[44:45], v[48:49], v[2:3]
	s_delay_alu instid0(VALU_DEP_1)
	v_fma_f64 v[72:73], v[46:47], v[0:1], v[44:45]
	v_mul_f64_e32 v[0:1], v[48:49], v[0:1]
	scratch_load_b128 v[48:51], off, off offset:516 th:TH_LOAD_LU ; 16-byte Folded Reload
	v_add_f64_e32 v[80:81], v[68:69], v[72:73]
	v_fma_f64 v[74:75], v[46:47], v[2:3], -v[0:1]
	ds_load_b128 v[0:3], v99 offset:2992
	v_add_f64_e32 v[88:89], v[70:71], v[74:75]
	v_add_f64_e64 v[66:67], v[74:75], -v[70:71]
	s_delay_alu instid0(VALU_DEP_2) | instskip(SKIP_2) | instid1(VALU_DEP_1)
	v_add_f64_e64 v[74:75], v[88:89], -v[86:87]
	s_wait_loadcnt_dscnt 0x0
	v_mul_f64_e32 v[44:45], v[50:51], v[2:3]
	v_fma_f64 v[46:47], v[48:49], v[0:1], v[44:45]
	v_mul_f64_e32 v[0:1], v[50:51], v[0:1]
	s_delay_alu instid0(VALU_DEP_1) | instskip(SKIP_3) | instid1(VALU_DEP_1)
	v_fma_f64 v[44:45], v[48:49], v[2:3], -v[0:1]
	ds_load_b128 v[0:3], v99 offset:3808
	s_wait_dscnt 0x0
	v_mul_f64_e32 v[48:49], v[78:79], v[2:3]
	v_fma_f64 v[50:51], v[76:77], v[0:1], v[48:49]
	v_mul_f64_e32 v[0:1], v[78:79], v[0:1]
	v_add_f64_e32 v[78:79], v[56:57], v[64:65]
	v_add_f64_e64 v[56:57], v[56:57], -v[64:65]
	v_add_f64_e64 v[64:65], v[72:73], -v[68:69]
	;; [unrolled: 1-line block ×3, first 2 shown]
	v_fma_f64 v[48:49], v[76:77], v[2:3], -v[0:1]
	v_add_f64_e32 v[76:77], v[52:53], v[60:61]
	v_add_f64_e64 v[60:61], v[52:53], -v[60:61]
	v_add_f64_e64 v[54:55], v[64:65], -v[56:57]
	;; [unrolled: 1-line block ×3, first 2 shown]
	v_add_f64_e32 v[52:53], v[64:65], v[56:57]
	v_add_f64_e32 v[0:1], v[78:79], v[76:77]
	v_add_f64_e64 v[68:69], v[78:79], -v[76:77]
	v_add_f64_e64 v[78:79], v[56:57], -v[60:61]
	v_add_f64_e32 v[56:57], v[66:67], v[58:59]
	v_mul_f64_e32 v[100:101], s[14:15], v[54:55]
	v_add_f64_e64 v[76:77], v[76:77], -v[80:81]
	v_add_f64_e32 v[94:95], v[52:53], v[60:61]
	s_wait_alu 0xfffe
	v_mul_f64_e32 v[52:53], s[0:1], v[70:71]
	v_mul_f64_e32 v[54:55], s[0:1], v[74:75]
	v_add_f64_e32 v[82:83], v[80:81], v[0:1]
	v_add_f64_e32 v[0:1], v[86:87], v[84:85]
	v_add_f64_e64 v[80:81], v[84:85], -v[88:89]
	v_add_f64_e64 v[86:87], v[66:67], -v[58:59]
	v_add_f64_e32 v[96:97], v[56:57], v[62:63]
	v_fma_f64 v[58:59], v[78:79], s[2:3], -v[100:101]
	v_add_f64_e64 v[84:85], v[60:61], -v[64:65]
	v_mul_f64_e32 v[60:61], s[2:3], v[92:93]
	v_mul_f64_e32 v[76:77], s[20:21], v[76:77]
	v_fma_f64 v[52:53], v[68:69], s[12:13], -v[52:53]
	v_fma_f64 v[54:55], v[72:73], s[12:13], -v[54:55]
	v_add_f64_e32 v[90:91], v[88:89], v[0:1]
	ds_load_b128 v[0:3], v99 offset:272
	v_add_f64_e64 v[88:89], v[62:63], -v[66:67]
	v_mul_f64_e32 v[62:63], s[2:3], v[78:79]
	v_mul_f64_e32 v[78:79], s[20:21], v[80:81]
	;; [unrolled: 1-line block ×3, first 2 shown]
	v_fma_f64 v[58:59], v[94:95], s[16:17], v[58:59]
	v_fma_f64 v[64:65], v[68:69], s[22:23], -v[76:77]
	v_fma_f64 v[70:71], v[70:71], s[0:1], v[76:77]
	s_wait_dscnt 0x0
	v_add_f64_e32 v[0:1], v[0:1], v[82:83]
	v_add_f64_e32 v[2:3], v[2:3], v[90:91]
	v_fma_f64 v[60:61], v[88:89], s[24:25], -v[60:61]
	v_fma_f64 v[62:63], v[84:85], s[24:25], -v[62:63]
	;; [unrolled: 1-line block ×3, first 2 shown]
	v_fma_f64 v[74:75], v[74:75], s[0:1], v[78:79]
	v_fma_f64 v[56:57], v[92:93], s[2:3], -v[86:87]
	v_fma_f64 v[82:83], v[82:83], s[8:9], v[0:1]
	v_fma_f64 v[90:91], v[90:91], s[8:9], v[2:3]
	;; [unrolled: 1-line block ×5, first 2 shown]
	v_add_f64_e32 v[64:65], v[64:65], v[82:83]
	v_add_f64_e32 v[78:79], v[70:71], v[82:83]
	;; [unrolled: 1-line block ×7, first 2 shown]
	v_add_f64_e64 v[64:65], v[64:65], -v[68:69]
	v_fma_f64 v[68:69], v[88:89], s[18:19], v[86:87]
	v_add_f64_e64 v[52:53], v[102:103], -v[56:57]
	v_add_f64_e32 v[56:57], v[56:57], v[102:103]
	v_add_f64_e64 v[62:63], v[66:67], -v[72:73]
	v_add_f64_e32 v[66:67], v[72:73], v[66:67]
	v_fma_f64 v[72:73], v[84:85], s[18:19], v[100:101]
	v_add_f64_e32 v[54:55], v[58:59], v[104:105]
	v_add_f64_e64 v[58:59], v[104:105], -v[58:59]
	v_fma_f64 v[68:69], v[96:97], s[16:17], v[68:69]
	s_delay_alu instid0(VALU_DEP_4) | instskip(NEXT) | instid1(VALU_DEP_2)
	v_fma_f64 v[76:77], v[94:95], s[16:17], v[72:73]
	v_add_f64_e32 v[71:72], v[68:69], v[78:79]
	v_add_f64_e64 v[78:79], v[78:79], -v[68:69]
	v_add_f64_e32 v[68:69], v[44:45], v[48:49]
	s_delay_alu instid0(VALU_DEP_4)
	v_add_f64_e64 v[73:74], v[80:81], -v[76:77]
	v_add_f64_e32 v[80:81], v[76:77], v[80:81]
	ds_store_b128 v177, v[71:74] offset:816
	ds_store_b128 v177, v[60:63] offset:1632
	;; [unrolled: 1-line block ×6, first 2 shown]
	v_add_f64_e32 v[56:57], v[30:31], v[38:39]
	v_add_f64_e32 v[58:59], v[34:35], v[42:43]
	;; [unrolled: 1-line block ×5, first 2 shown]
	v_add_f64_e64 v[34:35], v[34:35], -v[42:43]
	v_add_f64_e64 v[42:43], v[50:51], -v[46:47]
	;; [unrolled: 1-line block ×6, first 2 shown]
	v_add_f64_e32 v[52:53], v[58:59], v[56:57]
	v_add_f64_e64 v[44:45], v[58:59], -v[56:57]
	v_add_f64_e64 v[46:47], v[60:61], -v[58:59]
	;; [unrolled: 1-line block ×5, first 2 shown]
	v_add_f64_e32 v[28:29], v[42:43], v[34:35]
	v_add_f64_e64 v[58:59], v[34:35], -v[38:39]
	v_add_f64_e32 v[34:35], v[40:41], v[30:31]
	v_add_f64_e64 v[72:73], v[30:31], -v[36:37]
	v_add_f64_e64 v[50:51], v[68:69], -v[66:67]
	v_add_f64_e32 v[62:63], v[60:61], v[52:53]
	v_add_f64_e32 v[52:53], v[66:67], v[64:65]
	v_add_f64_e64 v[60:61], v[64:65], -v[68:69]
	v_add_f64_e64 v[64:65], v[38:39], -v[42:43]
	v_mul_f64_e32 v[56:57], s[20:21], v[56:57]
	v_mul_f64_e32 v[78:79], s[14:15], v[32:33]
	v_add_f64_e32 v[74:75], v[28:29], v[38:39]
	v_mul_f64_e32 v[38:39], s[2:3], v[58:59]
	v_add_f64_e32 v[76:77], v[34:35], v[36:37]
	v_add_f64_e64 v[66:67], v[40:41], -v[30:31]
	v_mul_f64_e32 v[28:29], s[0:1], v[46:47]
	v_mul_f64_e32 v[30:31], s[0:1], v[50:51]
	v_add_f64_e32 v[70:71], v[68:69], v[52:53]
	ds_load_b128 v[52:55], v99 offset:544
	v_add_f64_e64 v[68:69], v[36:37], -v[40:41]
	v_mul_f64_e32 v[36:37], s[2:3], v[72:73]
	v_fma_f64 v[32:33], v[58:59], s[2:3], -v[78:79]
	v_mul_f64_e32 v[58:59], s[20:21], v[60:61]
	v_fma_f64 v[38:39], v[64:65], s[24:25], -v[38:39]
	v_fma_f64 v[40:41], v[44:45], s[22:23], -v[56:57]
	v_mul_f64_e32 v[66:67], s[14:15], v[66:67]
	v_fma_f64 v[28:29], v[44:45], s[12:13], -v[28:29]
	v_fma_f64 v[30:31], v[48:49], s[12:13], -v[30:31]
	v_fma_f64 v[46:47], v[46:47], s[0:1], v[56:57]
	s_wait_dscnt 0x0
	v_add_f64_e32 v[52:53], v[52:53], v[62:63]
	v_add_f64_e32 v[54:55], v[54:55], v[70:71]
	v_fma_f64 v[36:37], v[68:69], s[24:25], -v[36:37]
	v_fma_f64 v[34:35], v[74:75], s[16:17], v[32:33]
	v_fma_f64 v[42:43], v[48:49], s[22:23], -v[58:59]
	v_fma_f64 v[48:49], v[74:75], s[16:17], v[38:39]
	v_fma_f64 v[50:51], v[50:51], s[0:1], v[58:59]
	v_fma_f64 v[32:33], v[72:73], s[2:3], -v[66:67]
	v_fma_f64 v[62:63], v[62:63], s[8:9], v[52:53]
	v_fma_f64 v[70:71], v[70:71], s[8:9], v[54:55]
	;; [unrolled: 1-line block ×3, first 2 shown]
	s_delay_alu instid0(VALU_DEP_4) | instskip(NEXT) | instid1(VALU_DEP_4)
	v_fma_f64 v[32:33], v[76:77], s[16:17], v[32:33]
	v_add_f64_e32 v[40:41], v[40:41], v[62:63]
	v_add_f64_e32 v[58:59], v[46:47], v[62:63]
	;; [unrolled: 1-line block ×7, first 2 shown]
	v_add_f64_e64 v[40:41], v[40:41], -v[44:45]
	v_fma_f64 v[44:45], v[64:65], s[18:19], v[78:79]
	v_add_f64_e64 v[28:29], v[80:81], -v[32:33]
	v_add_f64_e32 v[32:33], v[32:33], v[80:81]
	v_add_f64_e64 v[38:39], v[42:43], -v[48:49]
	v_add_f64_e32 v[42:43], v[48:49], v[42:43]
	v_fma_f64 v[48:49], v[68:69], s[18:19], v[66:67]
	v_add_f64_e32 v[30:31], v[34:35], v[82:83]
	v_add_f64_e64 v[34:35], v[82:83], -v[34:35]
	v_fma_f64 v[56:57], v[74:75], s[16:17], v[44:45]
	s_delay_alu instid0(VALU_DEP_4) | instskip(NEXT) | instid1(VALU_DEP_2)
	v_fma_f64 v[48:49], v[76:77], s[16:17], v[48:49]
	v_add_f64_e64 v[46:47], v[50:51], -v[56:57]
	v_add_f64_e32 v[50:51], v[56:57], v[50:51]
	s_delay_alu instid0(VALU_DEP_3)
	v_add_f64_e32 v[44:45], v[48:49], v[58:59]
	v_add_f64_e64 v[48:49], v[58:59], -v[48:49]
	ds_store_b128 v176, v[44:47] offset:816
	ds_store_b128 v176, v[36:39] offset:1632
	;; [unrolled: 1-line block ×6, first 2 shown]
	v_add_f64_e32 v[32:33], v[4:5], v[16:17]
	v_add_f64_e32 v[34:35], v[8:9], v[12:13]
	;; [unrolled: 1-line block ×5, first 2 shown]
	v_add_f64_e64 v[8:9], v[8:9], -v[12:13]
	v_add_f64_e64 v[12:13], v[26:27], -v[22:23]
	v_add_f64_e32 v[44:45], v[20:21], v[24:25]
	v_add_f64_e64 v[10:11], v[10:11], -v[14:15]
	v_add_f64_e64 v[14:15], v[4:5], -v[16:17]
	v_add_f64_e64 v[18:19], v[6:7], -v[18:19]
	v_add_f64_e64 v[16:17], v[24:25], -v[20:21]
	v_add_f64_e32 v[28:29], v[34:35], v[32:33]
	v_add_f64_e64 v[20:21], v[34:35], -v[32:33]
	v_add_f64_e64 v[22:23], v[36:37], -v[34:35]
	;; [unrolled: 1-line block ×5, first 2 shown]
	v_add_f64_e32 v[4:5], v[12:13], v[8:9]
	v_add_f64_e64 v[26:27], v[44:45], -v[42:43]
	v_add_f64_e64 v[34:35], v[8:9], -v[14:15]
	;; [unrolled: 1-line block ×4, first 2 shown]
	v_add_f64_e32 v[38:39], v[36:37], v[28:29]
	v_add_f64_e32 v[28:29], v[42:43], v[40:41]
	v_add_f64_e64 v[36:37], v[40:41], -v[44:45]
	v_add_f64_e32 v[42:43], v[16:17], v[10:11]
	v_add_f64_e64 v[40:41], v[14:15], -v[12:13]
	v_mul_f64_e32 v[50:51], s[14:15], v[6:7]
	v_add_f64_e32 v[58:59], v[4:5], v[14:15]
	v_mul_f64_e32 v[32:33], s[20:21], v[32:33]
	v_mul_f64_e32 v[14:15], s[2:3], v[34:35]
	;; [unrolled: 1-line block ×6, first 2 shown]
	v_add_f64_e32 v[46:47], v[44:45], v[28:29]
	ds_load_b128 v[28:31], v99
	v_add_f64_e64 v[44:45], v[18:19], -v[16:17]
	v_add_f64_e32 v[42:43], v[42:43], v[18:19]
	v_fma_f64 v[10:11], v[34:35], s[2:3], -v[50:51]
	v_mul_f64_e32 v[34:35], s[20:21], v[36:37]
	v_fma_f64 v[16:17], v[20:21], s[22:23], -v[32:33]
	v_fma_f64 v[14:15], v[40:41], s[24:25], -v[14:15]
	v_fma_f64 v[22:23], v[22:23], s[0:1], v[32:33]
	v_fma_f64 v[4:5], v[20:21], s[12:13], -v[4:5]
	v_fma_f64 v[6:7], v[24:25], s[12:13], -v[6:7]
	;; [unrolled: 1-line block ×3, first 2 shown]
	s_mov_b32 s2, 0x16f26017
	s_mov_b32 s3, 0x3f66f260
	s_wait_dscnt 0x0
	v_add_f64_e32 v[28:29], v[28:29], v[38:39]
	v_add_f64_e32 v[30:31], v[30:31], v[46:47]
	v_fma_f64 v[12:13], v[44:45], s[24:25], -v[12:13]
	v_fma_f64 v[10:11], v[58:59], s[16:17], v[10:11]
	v_fma_f64 v[18:19], v[24:25], s[22:23], -v[34:35]
	v_fma_f64 v[26:27], v[26:27], s[0:1], v[34:35]
	v_fma_f64 v[24:25], v[58:59], s[16:17], v[14:15]
	;; [unrolled: 1-line block ×6, first 2 shown]
	s_delay_alu instid0(VALU_DEP_3)
	v_add_f64_e32 v[16:17], v[16:17], v[38:39]
	v_add_f64_e32 v[60:61], v[4:5], v[38:39]
	;; [unrolled: 1-line block ×7, first 2 shown]
	v_add_f64_e64 v[16:17], v[16:17], -v[20:21]
	v_fma_f64 v[20:21], v[44:45], s[18:19], v[56:57]
	v_add_f64_e64 v[4:5], v[60:61], -v[8:9]
	v_add_f64_e32 v[8:9], v[8:9], v[60:61]
	v_add_f64_e64 v[14:15], v[18:19], -v[24:25]
	v_add_f64_e32 v[18:19], v[24:25], v[18:19]
	v_fma_f64 v[24:25], v[40:41], s[18:19], v[50:51]
	v_add_f64_e32 v[6:7], v[10:11], v[62:63]
	v_add_f64_e64 v[10:11], v[62:63], -v[10:11]
	v_fma_f64 v[32:33], v[42:43], s[16:17], v[20:21]
	s_delay_alu instid0(VALU_DEP_4) | instskip(NEXT) | instid1(VALU_DEP_2)
	v_fma_f64 v[34:35], v[58:59], s[16:17], v[24:25]
	v_add_f64_e64 v[24:25], v[22:23], -v[32:33]
	v_add_f64_e32 v[20:21], v[32:33], v[22:23]
	s_delay_alu instid0(VALU_DEP_3)
	v_add_f64_e32 v[26:27], v[34:35], v[36:37]
	v_add_f64_e64 v[22:23], v[36:37], -v[34:35]
	ds_store_b128 v99, v[28:31]
	ds_store_b128 v99, v[0:3] offset:272
	ds_store_b128 v99, v[12:15] offset:1632
	;; [unrolled: 1-line block ×8, first 2 shown]
	global_wb scope:SCOPE_SE
	s_wait_dscnt 0x0
	s_barrier_signal -1
	s_barrier_wait -1
	global_inv scope:SCOPE_SE
	s_clause 0x5
	scratch_load_b128 v[6:9], off, off offset:324 th:TH_LOAD_LU
	scratch_load_b128 v[54:57], off, off offset:340 th:TH_LOAD_LU
	scratch_load_b128 v[10:13], off, off offset:372 th:TH_LOAD_LU
	scratch_load_b128 v[14:17], off, off offset:356 th:TH_LOAD_LU
	scratch_load_b128 v[18:21], off, off offset:404 th:TH_LOAD_LU
	scratch_load_b128 v[58:61], off, off offset:388 th:TH_LOAD_LU
	ds_load_b128 v[0:3], v99
	s_clause 0x9
	scratch_load_b128 v[22:25], off, off offset:420 th:TH_LOAD_LU
	scratch_load_b128 v[26:29], off, off offset:452 th:TH_LOAD_LU
	;; [unrolled: 1-line block ×10, first 2 shown]
	s_wait_loadcnt_dscnt 0xf00
	v_mul_f64_e32 v[4:5], v[8:9], v[2:3]
	s_delay_alu instid0(VALU_DEP_1) | instskip(SKIP_1) | instid1(VALU_DEP_1)
	v_fma_f64 v[4:5], v[6:7], v[0:1], v[4:5]
	v_mul_f64_e32 v[0:1], v[8:9], v[0:1]
	v_fma_f64 v[6:7], v[6:7], v[2:3], -v[0:1]
	ds_load_b128 v[0:3], v99 offset:336
	s_wait_loadcnt_dscnt 0xd00
	v_mul_f64_e32 v[8:9], v[12:13], v[2:3]
	s_wait_alu 0xfffe
	v_mul_f64_e32 v[6:7], s[2:3], v[6:7]
	s_delay_alu instid0(VALU_DEP_2) | instskip(SKIP_1) | instid1(VALU_DEP_1)
	v_fma_f64 v[8:9], v[10:11], v[0:1], v[8:9]
	v_mul_f64_e32 v[0:1], v[12:13], v[0:1]
	v_fma_f64 v[10:11], v[10:11], v[2:3], -v[0:1]
	ds_load_b128 v[0:3], v99 offset:672
	s_wait_loadcnt_dscnt 0xc00
	v_mul_f64_e32 v[12:13], v[16:17], v[2:3]
	s_delay_alu instid0(VALU_DEP_1) | instskip(SKIP_1) | instid1(VALU_DEP_1)
	v_fma_f64 v[12:13], v[14:15], v[0:1], v[12:13]
	v_mul_f64_e32 v[0:1], v[16:17], v[0:1]
	v_fma_f64 v[14:15], v[14:15], v[2:3], -v[0:1]
	ds_load_b128 v[0:3], v99 offset:1008
	s_wait_loadcnt_dscnt 0xb00
	v_mul_f64_e32 v[16:17], v[20:21], v[2:3]
	s_delay_alu instid0(VALU_DEP_1) | instskip(SKIP_1) | instid1(VALU_DEP_1)
	;; [unrolled: 7-line block ×10, first 2 shown]
	v_fma_f64 v[48:49], v[50:51], v[0:1], v[48:49]
	v_mul_f64_e32 v[0:1], v[52:53], v[0:1]
	v_fma_f64 v[50:51], v[50:51], v[2:3], -v[0:1]
	ds_load_b128 v[0:3], v99 offset:4032
	s_wait_dscnt 0x0
	v_mul_f64_e32 v[52:53], v[56:57], v[2:3]
	s_delay_alu instid0(VALU_DEP_1) | instskip(SKIP_1) | instid1(VALU_DEP_1)
	v_fma_f64 v[52:53], v[54:55], v[0:1], v[52:53]
	v_mul_f64_e32 v[0:1], v[56:57], v[0:1]
	v_fma_f64 v[54:55], v[54:55], v[2:3], -v[0:1]
	ds_load_b128 v[0:3], v99 offset:4368
	s_wait_dscnt 0x0
	v_mul_f64_e32 v[56:57], v[60:61], v[2:3]
	s_delay_alu instid0(VALU_DEP_1) | instskip(SKIP_1) | instid1(VALU_DEP_1)
	v_fma_f64 v[56:57], v[58:59], v[0:1], v[56:57]
	v_mul_f64_e32 v[0:1], v[60:61], v[0:1]
	v_fma_f64 v[58:59], v[58:59], v[2:3], -v[0:1]
	ds_load_b128 v[0:3], v99 offset:4704
	s_wait_loadcnt_dscnt 0x100
	v_mul_f64_e32 v[60:61], v[64:65], v[2:3]
	s_delay_alu instid0(VALU_DEP_1) | instskip(SKIP_1) | instid1(VALU_DEP_1)
	v_fma_f64 v[60:61], v[62:63], v[0:1], v[60:61]
	v_mul_f64_e32 v[0:1], v[64:65], v[0:1]
	v_fma_f64 v[62:63], v[62:63], v[2:3], -v[0:1]
	ds_load_b128 v[0:3], v99 offset:5040
	s_wait_loadcnt_dscnt 0x0
	v_mul_f64_e32 v[64:65], v[68:69], v[2:3]
	s_delay_alu instid0(VALU_DEP_1) | instskip(SKIP_1) | instid1(VALU_DEP_1)
	v_fma_f64 v[64:65], v[66:67], v[0:1], v[64:65]
	v_mul_f64_e32 v[0:1], v[68:69], v[0:1]
	v_fma_f64 v[0:1], v[66:67], v[2:3], -v[0:1]
	scratch_load_b64 v[2:3], off, off offset:220 th:TH_LOAD_LU ; 8-byte Folded Reload
	s_wait_loadcnt 0x0
	v_mov_b32_e32 v66, v2
	s_delay_alu instid0(VALU_DEP_1) | instskip(NEXT) | instid1(VALU_DEP_1)
	v_mad_co_u64_u32 v[2:3], null, s6, v66, 0
	v_mad_co_u64_u32 v[66:67], null, s7, v66, v[3:4]
	v_mul_f64_e32 v[4:5], s[2:3], v[4:5]
	s_delay_alu instid0(VALU_DEP_2) | instskip(SKIP_1) | instid1(VALU_DEP_2)
	v_mov_b32_e32 v3, v66
	v_mad_co_u64_u32 v[66:67], null, s4, v216, 0
	v_lshlrev_b64_e32 v[2:3], 4, v[2:3]
	s_delay_alu instid0(VALU_DEP_2) | instskip(NEXT) | instid1(VALU_DEP_2)
	v_mad_co_u64_u32 v[67:68], null, s5, v216, v[67:68]
	v_add_co_u32 v2, s0, s10, v2
	s_wait_alu 0xf1ff
	s_delay_alu instid0(VALU_DEP_3) | instskip(NEXT) | instid1(VALU_DEP_3)
	v_add_co_ci_u32_e64 v3, s0, s11, v3, s0
	v_lshlrev_b64_e32 v[66:67], 4, v[66:67]
	s_delay_alu instid0(VALU_DEP_1) | instskip(SKIP_1) | instid1(VALU_DEP_2)
	v_add_co_u32 v66, s0, v2, v66
	s_wait_alu 0xf1ff
	v_add_co_ci_u32_e64 v67, s0, v3, v67, s0
	s_mul_u64 s[0:1], s[4:5], 21
	s_wait_alu 0xfffe
	s_lshl_b64 s[6:7], s[0:1], 4
	global_store_b128 v[66:67], v[4:7], off
	v_mul_f64_e32 v[4:5], s[2:3], v[8:9]
	v_mul_f64_e32 v[6:7], s[2:3], v[10:11]
	s_wait_alu 0xfffe
	v_add_co_u32 v8, s0, v66, s6
	s_wait_alu 0xf1ff
	v_add_co_ci_u32_e64 v9, s0, s7, v67, s0
	v_mul_f64_e32 v[10:11], s[2:3], v[22:23]
	v_mul_f64_e32 v[22:23], s[2:3], v[46:47]
	global_store_b128 v[8:9], v[4:7], off
	v_mul_f64_e32 v[4:5], s[2:3], v[12:13]
	v_mul_f64_e32 v[6:7], s[2:3], v[14:15]
	v_add_co_u32 v12, s0, v8, s6
	s_wait_alu 0xf1ff
	v_add_co_ci_u32_e64 v13, s0, s7, v9, s0
	v_mul_f64_e32 v[8:9], s[2:3], v[20:21]
	v_mul_f64_e32 v[14:15], s[2:3], v[26:27]
	;; [unrolled: 1-line block ×3, first 2 shown]
	global_store_b128 v[12:13], v[4:7], off
	v_mul_f64_e32 v[6:7], s[2:3], v[18:19]
	scratch_load_b128 v[18:21], off, off offset:436 th:TH_LOAD_LU ; 16-byte Folded Reload
	v_mul_f64_e32 v[4:5], s[2:3], v[16:17]
	v_add_co_u32 v16, s0, v12, s6
	s_wait_alu 0xf1ff
	v_add_co_ci_u32_e64 v17, s0, s7, v13, s0
	v_mul_f64_e32 v[12:13], s[2:3], v[24:25]
	v_mul_f64_e32 v[24:25], s[2:3], v[48:49]
	global_store_b128 v[16:17], v[4:7], off
	ds_load_b128 v[4:7], v99 offset:5376
	v_add_co_u32 v16, s0, v16, s6
	s_wait_alu 0xf1ff
	v_add_co_ci_u32_e64 v17, s0, s7, v17, s0
	global_store_b128 v[16:17], v[8:11], off
	v_add_co_u32 v10, s0, v16, s6
	s_wait_alu 0xf1ff
	v_add_co_ci_u32_e64 v11, s0, s7, v17, s0
	s_delay_alu instid0(VALU_DEP_2)
	v_add_co_u32 v70, s0, v10, s6
	global_store_b128 v[10:11], v[12:15], off
	s_wait_alu 0xf1ff
	v_add_co_ci_u32_e64 v71, s0, s7, v11, s0
	v_mul_f64_e32 v[10:11], s[2:3], v[34:35]
	v_add_co_u32 v72, s0, v70, s6
	s_wait_alu 0xf1ff
	s_delay_alu instid0(VALU_DEP_3)
	v_add_co_ci_u32_e64 v73, s0, s7, v71, s0
	v_mul_f64_e32 v[12:13], s[2:3], v[36:37]
	v_mul_f64_e32 v[14:15], s[2:3], v[38:39]
	v_add_co_u32 v74, s0, v72, s6
	s_wait_alu 0xf1ff
	v_add_co_ci_u32_e64 v75, s0, s7, v73, s0
	v_mul_f64_e32 v[34:35], s[2:3], v[58:59]
	s_delay_alu instid0(VALU_DEP_3) | instskip(SKIP_1) | instid1(VALU_DEP_3)
	v_add_co_u32 v76, s0, v74, s6
	s_wait_alu 0xf1ff
	v_add_co_ci_u32_e64 v77, s0, s7, v75, s0
	v_mul_f64_e32 v[36:37], s[2:3], v[60:61]
	v_mul_f64_e32 v[38:39], s[2:3], v[62:63]
	s_wait_loadcnt_dscnt 0x0
	v_mul_f64_e32 v[8:9], v[20:21], v[6:7]
	v_mul_f64_e32 v[16:17], v[20:21], v[4:5]
	;; [unrolled: 1-line block ×3, first 2 shown]
	s_delay_alu instid0(VALU_DEP_3) | instskip(NEXT) | instid1(VALU_DEP_3)
	v_fma_f64 v[66:67], v[18:19], v[4:5], v[8:9]
	v_fma_f64 v[68:69], v[18:19], v[6:7], -v[16:17]
	v_mul_f64_e32 v[4:5], s[2:3], v[28:29]
	v_mul_f64_e32 v[6:7], s[2:3], v[30:31]
	;; [unrolled: 1-line block ×9, first 2 shown]
	v_add_co_u32 v0, s0, v76, s6
	v_mul_f64_e32 v[40:41], s[2:3], v[64:65]
	s_wait_alu 0xf1ff
	v_add_co_ci_u32_e64 v1, s0, s7, v77, s0
	v_mul_f64_e32 v[44:45], s[2:3], v[66:67]
	v_mul_f64_e32 v[46:47], s[2:3], v[68:69]
	global_store_b128 v[70:71], v[4:7], off
	v_add_co_u32 v4, s0, v0, s6
	s_wait_alu 0xf1ff
	v_add_co_ci_u32_e64 v5, s0, s7, v1, s0
	global_store_b128 v[72:73], v[8:11], off
	v_add_co_u32 v6, s0, v4, s6
	s_wait_alu 0xf1ff
	v_add_co_ci_u32_e64 v7, s0, s7, v5, s0
	;; [unrolled: 4-line block ×6, first 2 shown]
	global_store_b128 v[6:7], v[28:31], off
	global_store_b128 v[8:9], v[32:35], off
	;; [unrolled: 1-line block ×5, first 2 shown]
	s_and_b32 exec_lo, exec_lo, vcc_lo
	s_cbranch_execz .LBB0_15
; %bb.14:
	scratch_load_b64 v[18:19], off, off th:TH_LOAD_LU ; 8-byte Folded Reload
	v_mad_co_u64_u32 v[0:1], null, 0xffffec10, s4, v[0:1]
	s_mul_i32 s0, s5, 0xffffec10
	s_wait_alu 0xfffe
	s_sub_co_i32 s0, s0, s4
	s_wait_alu 0xfffe
	s_delay_alu instid0(VALU_DEP_1)
	v_add_nc_u32_e32 v1, s0, v1
	s_mul_u64 s[0:1], s[4:5], 0x2a0
	s_wait_loadcnt 0x0
	global_load_b128 v[4:7], v[18:19], off offset:272
	ds_load_b128 v[8:11], v99 offset:272
	ds_load_b128 v[12:15], v99 offset:608
	s_wait_loadcnt_dscnt 0x1
	v_mul_f64_e32 v[16:17], v[10:11], v[6:7]
	v_mul_f64_e32 v[6:7], v[8:9], v[6:7]
	s_delay_alu instid0(VALU_DEP_2) | instskip(NEXT) | instid1(VALU_DEP_2)
	v_fma_f64 v[8:9], v[8:9], v[4:5], v[16:17]
	v_fma_f64 v[6:7], v[4:5], v[10:11], -v[6:7]
	s_delay_alu instid0(VALU_DEP_2) | instskip(NEXT) | instid1(VALU_DEP_2)
	v_mul_f64_e32 v[4:5], s[2:3], v[8:9]
	v_mul_f64_e32 v[6:7], s[2:3], v[6:7]
	global_store_b128 v[0:1], v[4:7], off
	global_load_b128 v[4:7], v[18:19], off offset:608
	v_add_co_u32 v0, vcc_lo, v0, s6
	s_wait_alu 0xfffd
	v_add_co_ci_u32_e32 v1, vcc_lo, s7, v1, vcc_lo
	s_wait_loadcnt_dscnt 0x0
	v_mul_f64_e32 v[8:9], v[14:15], v[6:7]
	v_mul_f64_e32 v[6:7], v[12:13], v[6:7]
	s_delay_alu instid0(VALU_DEP_2) | instskip(NEXT) | instid1(VALU_DEP_2)
	v_fma_f64 v[8:9], v[12:13], v[4:5], v[8:9]
	v_fma_f64 v[6:7], v[4:5], v[14:15], -v[6:7]
	s_delay_alu instid0(VALU_DEP_2) | instskip(NEXT) | instid1(VALU_DEP_2)
	v_mul_f64_e32 v[4:5], s[2:3], v[8:9]
	v_mul_f64_e32 v[6:7], s[2:3], v[6:7]
	global_store_b128 v[0:1], v[4:7], off
	global_load_b128 v[4:7], v[18:19], off offset:944
	ds_load_b128 v[8:11], v99 offset:944
	ds_load_b128 v[12:15], v99 offset:1280
	v_add_co_u32 v0, vcc_lo, v0, s6
	s_wait_alu 0xfffd
	v_add_co_ci_u32_e32 v1, vcc_lo, s7, v1, vcc_lo
	s_wait_loadcnt_dscnt 0x1
	v_mul_f64_e32 v[16:17], v[10:11], v[6:7]
	v_mul_f64_e32 v[6:7], v[8:9], v[6:7]
	s_delay_alu instid0(VALU_DEP_2) | instskip(NEXT) | instid1(VALU_DEP_2)
	v_fma_f64 v[8:9], v[8:9], v[4:5], v[16:17]
	v_fma_f64 v[6:7], v[4:5], v[10:11], -v[6:7]
	s_delay_alu instid0(VALU_DEP_2) | instskip(NEXT) | instid1(VALU_DEP_2)
	v_mul_f64_e32 v[4:5], s[2:3], v[8:9]
	v_mul_f64_e32 v[6:7], s[2:3], v[6:7]
	global_store_b128 v[0:1], v[4:7], off
	global_load_b128 v[4:7], v[18:19], off offset:1280
	s_wait_loadcnt_dscnt 0x0
	v_mul_f64_e32 v[8:9], v[14:15], v[6:7]
	v_mul_f64_e32 v[6:7], v[12:13], v[6:7]
	s_delay_alu instid0(VALU_DEP_2) | instskip(SKIP_3) | instid1(VALU_DEP_2)
	v_fma_f64 v[8:9], v[12:13], v[4:5], v[8:9]
	scratch_load_b32 v12, off, off offset:836 th:TH_LOAD_LU ; 4-byte Folded Reload
	v_fma_f64 v[6:7], v[4:5], v[14:15], -v[6:7]
	v_mul_f64_e32 v[4:5], s[2:3], v[8:9]
	v_mul_f64_e32 v[6:7], s[2:3], v[6:7]
	s_wait_loadcnt 0x0
	v_mad_co_u64_u32 v[10:11], null, s4, v12, 0
	s_delay_alu instid0(VALU_DEP_1) | instskip(NEXT) | instid1(VALU_DEP_1)
	v_mov_b32_e32 v8, v11
	v_mad_co_u64_u32 v[8:9], null, s5, v12, v[8:9]
	s_delay_alu instid0(VALU_DEP_1) | instskip(NEXT) | instid1(VALU_DEP_1)
	v_mov_b32_e32 v11, v8
	v_lshlrev_b64_e32 v[8:9], 4, v[10:11]
	s_delay_alu instid0(VALU_DEP_1) | instskip(SKIP_1) | instid1(VALU_DEP_2)
	v_add_co_u32 v8, vcc_lo, v2, v8
	s_wait_alu 0xfffd
	v_add_co_ci_u32_e32 v9, vcc_lo, v3, v9, vcc_lo
	s_wait_alu 0xfffe
	v_add_co_u32 v0, vcc_lo, v0, s0
	s_wait_alu 0xfffd
	v_add_co_ci_u32_e32 v1, vcc_lo, s1, v1, vcc_lo
	global_store_b128 v[8:9], v[4:7], off
	global_load_b128 v[4:7], v[18:19], off offset:1616
	ds_load_b128 v[8:11], v99 offset:1616
	ds_load_b128 v[12:15], v99 offset:1952
	s_wait_loadcnt_dscnt 0x1
	v_mul_f64_e32 v[16:17], v[10:11], v[6:7]
	v_mul_f64_e32 v[6:7], v[8:9], v[6:7]
	s_delay_alu instid0(VALU_DEP_2) | instskip(NEXT) | instid1(VALU_DEP_2)
	v_fma_f64 v[8:9], v[8:9], v[4:5], v[16:17]
	v_fma_f64 v[6:7], v[4:5], v[10:11], -v[6:7]
	s_delay_alu instid0(VALU_DEP_2) | instskip(NEXT) | instid1(VALU_DEP_2)
	v_mul_f64_e32 v[4:5], s[2:3], v[8:9]
	v_mul_f64_e32 v[6:7], s[2:3], v[6:7]
	global_store_b128 v[0:1], v[4:7], off
	global_load_b128 v[4:7], v[18:19], off offset:1952
	v_add_co_u32 v0, vcc_lo, v0, s6
	s_wait_alu 0xfffd
	v_add_co_ci_u32_e32 v1, vcc_lo, s7, v1, vcc_lo
	s_wait_loadcnt_dscnt 0x0
	v_mul_f64_e32 v[8:9], v[14:15], v[6:7]
	v_mul_f64_e32 v[6:7], v[12:13], v[6:7]
	s_delay_alu instid0(VALU_DEP_2) | instskip(NEXT) | instid1(VALU_DEP_2)
	v_fma_f64 v[8:9], v[12:13], v[4:5], v[8:9]
	v_fma_f64 v[6:7], v[4:5], v[14:15], -v[6:7]
	s_delay_alu instid0(VALU_DEP_2) | instskip(NEXT) | instid1(VALU_DEP_2)
	v_mul_f64_e32 v[4:5], s[2:3], v[8:9]
	v_mul_f64_e32 v[6:7], s[2:3], v[6:7]
	global_store_b128 v[0:1], v[4:7], off
	global_load_b128 v[4:7], v[18:19], off offset:2288
	ds_load_b128 v[8:11], v99 offset:2288
	ds_load_b128 v[12:15], v99 offset:2624
	v_add_co_u32 v0, vcc_lo, v0, s6
	s_wait_alu 0xfffd
	v_add_co_ci_u32_e32 v1, vcc_lo, s7, v1, vcc_lo
	s_wait_loadcnt_dscnt 0x1
	v_mul_f64_e32 v[16:17], v[10:11], v[6:7]
	v_mul_f64_e32 v[6:7], v[8:9], v[6:7]
	s_delay_alu instid0(VALU_DEP_2) | instskip(NEXT) | instid1(VALU_DEP_2)
	v_fma_f64 v[8:9], v[8:9], v[4:5], v[16:17]
	v_fma_f64 v[6:7], v[4:5], v[10:11], -v[6:7]
	s_delay_alu instid0(VALU_DEP_2) | instskip(NEXT) | instid1(VALU_DEP_2)
	v_mul_f64_e32 v[4:5], s[2:3], v[8:9]
	v_mul_f64_e32 v[6:7], s[2:3], v[6:7]
	global_store_b128 v[0:1], v[4:7], off
	global_load_b128 v[4:7], v[18:19], off offset:2624
	s_wait_loadcnt_dscnt 0x0
	v_mul_f64_e32 v[8:9], v[14:15], v[6:7]
	v_mul_f64_e32 v[6:7], v[12:13], v[6:7]
	s_delay_alu instid0(VALU_DEP_2) | instskip(SKIP_3) | instid1(VALU_DEP_2)
	v_fma_f64 v[8:9], v[12:13], v[4:5], v[8:9]
	scratch_load_b32 v12, off, off offset:832 th:TH_LOAD_LU ; 4-byte Folded Reload
	v_fma_f64 v[6:7], v[4:5], v[14:15], -v[6:7]
	v_mul_f64_e32 v[4:5], s[2:3], v[8:9]
	v_mul_f64_e32 v[6:7], s[2:3], v[6:7]
	s_wait_loadcnt 0x0
	v_mad_co_u64_u32 v[10:11], null, s4, v12, 0
	s_delay_alu instid0(VALU_DEP_1) | instskip(NEXT) | instid1(VALU_DEP_1)
	v_mov_b32_e32 v8, v11
	v_mad_co_u64_u32 v[8:9], null, s5, v12, v[8:9]
	s_delay_alu instid0(VALU_DEP_1) | instskip(NEXT) | instid1(VALU_DEP_1)
	v_mov_b32_e32 v11, v8
	v_lshlrev_b64_e32 v[8:9], 4, v[10:11]
	s_delay_alu instid0(VALU_DEP_1) | instskip(SKIP_1) | instid1(VALU_DEP_2)
	v_add_co_u32 v8, vcc_lo, v2, v8
	s_wait_alu 0xfffd
	v_add_co_ci_u32_e32 v9, vcc_lo, v3, v9, vcc_lo
	v_add_co_u32 v0, vcc_lo, v0, s0
	s_wait_alu 0xfffd
	v_add_co_ci_u32_e32 v1, vcc_lo, s1, v1, vcc_lo
	global_store_b128 v[8:9], v[4:7], off
	global_load_b128 v[4:7], v[18:19], off offset:2960
	ds_load_b128 v[8:11], v99 offset:2960
	ds_load_b128 v[12:15], v99 offset:3296
	s_wait_loadcnt_dscnt 0x1
	v_mul_f64_e32 v[16:17], v[10:11], v[6:7]
	v_mul_f64_e32 v[6:7], v[8:9], v[6:7]
	s_delay_alu instid0(VALU_DEP_2) | instskip(NEXT) | instid1(VALU_DEP_2)
	v_fma_f64 v[8:9], v[8:9], v[4:5], v[16:17]
	v_fma_f64 v[6:7], v[4:5], v[10:11], -v[6:7]
	s_delay_alu instid0(VALU_DEP_2) | instskip(NEXT) | instid1(VALU_DEP_2)
	v_mul_f64_e32 v[4:5], s[2:3], v[8:9]
	v_mul_f64_e32 v[6:7], s[2:3], v[6:7]
	global_store_b128 v[0:1], v[4:7], off
	global_load_b128 v[4:7], v[18:19], off offset:3296
	v_add_co_u32 v0, vcc_lo, v0, s6
	s_wait_alu 0xfffd
	v_add_co_ci_u32_e32 v1, vcc_lo, s7, v1, vcc_lo
	s_wait_loadcnt_dscnt 0x0
	v_mul_f64_e32 v[8:9], v[14:15], v[6:7]
	v_mul_f64_e32 v[6:7], v[12:13], v[6:7]
	s_delay_alu instid0(VALU_DEP_2) | instskip(NEXT) | instid1(VALU_DEP_2)
	v_fma_f64 v[8:9], v[12:13], v[4:5], v[8:9]
	v_fma_f64 v[6:7], v[4:5], v[14:15], -v[6:7]
	s_delay_alu instid0(VALU_DEP_2) | instskip(NEXT) | instid1(VALU_DEP_2)
	v_mul_f64_e32 v[4:5], s[2:3], v[8:9]
	v_mul_f64_e32 v[6:7], s[2:3], v[6:7]
	global_store_b128 v[0:1], v[4:7], off
	global_load_b128 v[4:7], v[18:19], off offset:3632
	ds_load_b128 v[8:11], v99 offset:3632
	ds_load_b128 v[12:15], v99 offset:3968
	v_add_co_u32 v0, vcc_lo, v0, s6
	s_wait_alu 0xfffd
	v_add_co_ci_u32_e32 v1, vcc_lo, s7, v1, vcc_lo
	s_wait_loadcnt_dscnt 0x1
	v_mul_f64_e32 v[16:17], v[10:11], v[6:7]
	v_mul_f64_e32 v[6:7], v[8:9], v[6:7]
	s_delay_alu instid0(VALU_DEP_2) | instskip(NEXT) | instid1(VALU_DEP_2)
	v_fma_f64 v[8:9], v[8:9], v[4:5], v[16:17]
	v_fma_f64 v[6:7], v[4:5], v[10:11], -v[6:7]
	s_delay_alu instid0(VALU_DEP_2) | instskip(NEXT) | instid1(VALU_DEP_2)
	v_mul_f64_e32 v[4:5], s[2:3], v[8:9]
	v_mul_f64_e32 v[6:7], s[2:3], v[6:7]
	global_store_b128 v[0:1], v[4:7], off
	global_load_b128 v[4:7], v[18:19], off offset:3968
	s_wait_loadcnt_dscnt 0x0
	v_mul_f64_e32 v[8:9], v[14:15], v[6:7]
	v_mul_f64_e32 v[6:7], v[12:13], v[6:7]
	s_delay_alu instid0(VALU_DEP_2) | instskip(SKIP_3) | instid1(VALU_DEP_2)
	v_fma_f64 v[8:9], v[12:13], v[4:5], v[8:9]
	scratch_load_b32 v12, off, off offset:828 th:TH_LOAD_LU ; 4-byte Folded Reload
	v_fma_f64 v[6:7], v[4:5], v[14:15], -v[6:7]
	v_mul_f64_e32 v[4:5], s[2:3], v[8:9]
	v_mul_f64_e32 v[6:7], s[2:3], v[6:7]
	s_wait_loadcnt 0x0
	v_mad_co_u64_u32 v[10:11], null, s4, v12, 0
	s_delay_alu instid0(VALU_DEP_1) | instskip(NEXT) | instid1(VALU_DEP_1)
	v_mov_b32_e32 v8, v11
	v_mad_co_u64_u32 v[8:9], null, s5, v12, v[8:9]
	s_delay_alu instid0(VALU_DEP_1) | instskip(NEXT) | instid1(VALU_DEP_1)
	v_mov_b32_e32 v11, v8
	v_lshlrev_b64_e32 v[8:9], 4, v[10:11]
	s_delay_alu instid0(VALU_DEP_1) | instskip(SKIP_1) | instid1(VALU_DEP_2)
	v_add_co_u32 v8, vcc_lo, v2, v8
	s_wait_alu 0xfffd
	v_add_co_ci_u32_e32 v9, vcc_lo, v3, v9, vcc_lo
	v_add_co_u32 v0, vcc_lo, v0, s0
	s_wait_alu 0xfffd
	v_add_co_ci_u32_e32 v1, vcc_lo, s1, v1, vcc_lo
	global_store_b128 v[8:9], v[4:7], off
	global_load_b128 v[4:7], v[18:19], off offset:4304
	ds_load_b128 v[8:11], v99 offset:4304
	ds_load_b128 v[12:15], v99 offset:4640
	s_wait_loadcnt_dscnt 0x1
	v_mul_f64_e32 v[16:17], v[10:11], v[6:7]
	v_mul_f64_e32 v[6:7], v[8:9], v[6:7]
	s_delay_alu instid0(VALU_DEP_2) | instskip(NEXT) | instid1(VALU_DEP_2)
	v_fma_f64 v[8:9], v[8:9], v[4:5], v[16:17]
	v_fma_f64 v[6:7], v[4:5], v[10:11], -v[6:7]
	s_delay_alu instid0(VALU_DEP_2) | instskip(NEXT) | instid1(VALU_DEP_2)
	v_mul_f64_e32 v[4:5], s[2:3], v[8:9]
	v_mul_f64_e32 v[6:7], s[2:3], v[6:7]
	global_store_b128 v[0:1], v[4:7], off
	global_load_b128 v[4:7], v[18:19], off offset:4640
	v_add_co_u32 v0, vcc_lo, v0, s6
	s_wait_alu 0xfffd
	v_add_co_ci_u32_e32 v1, vcc_lo, s7, v1, vcc_lo
	s_wait_loadcnt_dscnt 0x0
	v_mul_f64_e32 v[8:9], v[14:15], v[6:7]
	v_mul_f64_e32 v[6:7], v[12:13], v[6:7]
	s_delay_alu instid0(VALU_DEP_2) | instskip(NEXT) | instid1(VALU_DEP_2)
	v_fma_f64 v[8:9], v[12:13], v[4:5], v[8:9]
	v_fma_f64 v[6:7], v[4:5], v[14:15], -v[6:7]
	s_delay_alu instid0(VALU_DEP_2) | instskip(NEXT) | instid1(VALU_DEP_2)
	v_mul_f64_e32 v[4:5], s[2:3], v[8:9]
	v_mul_f64_e32 v[6:7], s[2:3], v[6:7]
	global_store_b128 v[0:1], v[4:7], off
	global_load_b128 v[4:7], v[18:19], off offset:4976
	ds_load_b128 v[8:11], v99 offset:4976
	ds_load_b128 v[12:15], v99 offset:5312
	s_wait_loadcnt_dscnt 0x1
	v_mul_f64_e32 v[16:17], v[10:11], v[6:7]
	v_mul_f64_e32 v[6:7], v[8:9], v[6:7]
	s_delay_alu instid0(VALU_DEP_2) | instskip(NEXT) | instid1(VALU_DEP_2)
	v_fma_f64 v[8:9], v[8:9], v[4:5], v[16:17]
	v_fma_f64 v[6:7], v[4:5], v[10:11], -v[6:7]
	s_delay_alu instid0(VALU_DEP_2) | instskip(NEXT) | instid1(VALU_DEP_2)
	v_mul_f64_e32 v[4:5], s[2:3], v[8:9]
	v_mul_f64_e32 v[6:7], s[2:3], v[6:7]
	v_add_co_u32 v8, vcc_lo, v0, s6
	s_wait_alu 0xfffd
	v_add_co_ci_u32_e32 v9, vcc_lo, s7, v1, vcc_lo
	global_store_b128 v[8:9], v[4:7], off
	global_load_b128 v[4:7], v[18:19], off offset:5312
	s_wait_loadcnt_dscnt 0x0
	v_mul_f64_e32 v[0:1], v[14:15], v[6:7]
	v_mul_f64_e32 v[6:7], v[12:13], v[6:7]
	s_delay_alu instid0(VALU_DEP_2) | instskip(SKIP_3) | instid1(VALU_DEP_2)
	v_fma_f64 v[0:1], v[12:13], v[4:5], v[0:1]
	scratch_load_b32 v12, off, off offset:824 th:TH_LOAD_LU ; 4-byte Folded Reload
	v_fma_f64 v[6:7], v[4:5], v[14:15], -v[6:7]
	v_mul_f64_e32 v[4:5], s[2:3], v[0:1]
	v_mul_f64_e32 v[6:7], s[2:3], v[6:7]
	s_wait_loadcnt 0x0
	v_mad_co_u64_u32 v[10:11], null, s4, v12, 0
	s_delay_alu instid0(VALU_DEP_1) | instskip(NEXT) | instid1(VALU_DEP_1)
	v_mov_b32_e32 v0, v11
	v_mad_co_u64_u32 v[0:1], null, s5, v12, v[0:1]
	s_delay_alu instid0(VALU_DEP_1) | instskip(NEXT) | instid1(VALU_DEP_1)
	v_mov_b32_e32 v11, v0
	v_lshlrev_b64_e32 v[0:1], 4, v[10:11]
	s_delay_alu instid0(VALU_DEP_1) | instskip(SKIP_1) | instid1(VALU_DEP_2)
	v_add_co_u32 v0, vcc_lo, v2, v0
	s_wait_alu 0xfffd
	v_add_co_ci_u32_e32 v1, vcc_lo, v3, v1, vcc_lo
	global_store_b128 v[0:1], v[4:7], off
	global_load_b128 v[0:3], v[18:19], off offset:5648
	ds_load_b128 v[4:7], v99 offset:5648
	s_wait_loadcnt_dscnt 0x0
	v_mul_f64_e32 v[10:11], v[6:7], v[2:3]
	v_mul_f64_e32 v[2:3], v[4:5], v[2:3]
	s_delay_alu instid0(VALU_DEP_2) | instskip(NEXT) | instid1(VALU_DEP_2)
	v_fma_f64 v[4:5], v[4:5], v[0:1], v[10:11]
	v_fma_f64 v[2:3], v[0:1], v[6:7], -v[2:3]
	s_delay_alu instid0(VALU_DEP_2) | instskip(NEXT) | instid1(VALU_DEP_2)
	v_mul_f64_e32 v[0:1], s[2:3], v[4:5]
	v_mul_f64_e32 v[2:3], s[2:3], v[2:3]
	v_add_co_u32 v4, vcc_lo, v8, s0
	s_wait_alu 0xfffd
	v_add_co_ci_u32_e32 v5, vcc_lo, s1, v9, vcc_lo
	global_store_b128 v[4:5], v[0:3], off
.LBB0_15:
	s_nop 0
	s_sendmsg sendmsg(MSG_DEALLOC_VGPRS)
	s_endpgm
	.section	.rodata,"a",@progbits
	.p2align	6, 0x0
	.amdhsa_kernel bluestein_single_back_len357_dim1_dp_op_CI_CI
		.amdhsa_group_segment_fixed_size 62832
		.amdhsa_private_segment_fixed_size 1012
		.amdhsa_kernarg_size 104
		.amdhsa_user_sgpr_count 2
		.amdhsa_user_sgpr_dispatch_ptr 0
		.amdhsa_user_sgpr_queue_ptr 0
		.amdhsa_user_sgpr_kernarg_segment_ptr 1
		.amdhsa_user_sgpr_dispatch_id 0
		.amdhsa_user_sgpr_private_segment_size 0
		.amdhsa_wavefront_size32 1
		.amdhsa_uses_dynamic_stack 0
		.amdhsa_enable_private_segment 1
		.amdhsa_system_sgpr_workgroup_id_x 1
		.amdhsa_system_sgpr_workgroup_id_y 0
		.amdhsa_system_sgpr_workgroup_id_z 0
		.amdhsa_system_sgpr_workgroup_info 0
		.amdhsa_system_vgpr_workitem_id 0
		.amdhsa_next_free_vgpr 256
		.amdhsa_next_free_sgpr 60
		.amdhsa_reserve_vcc 1
		.amdhsa_float_round_mode_32 0
		.amdhsa_float_round_mode_16_64 0
		.amdhsa_float_denorm_mode_32 3
		.amdhsa_float_denorm_mode_16_64 3
		.amdhsa_fp16_overflow 0
		.amdhsa_workgroup_processor_mode 1
		.amdhsa_memory_ordered 1
		.amdhsa_forward_progress 0
		.amdhsa_round_robin_scheduling 0
		.amdhsa_exception_fp_ieee_invalid_op 0
		.amdhsa_exception_fp_denorm_src 0
		.amdhsa_exception_fp_ieee_div_zero 0
		.amdhsa_exception_fp_ieee_overflow 0
		.amdhsa_exception_fp_ieee_underflow 0
		.amdhsa_exception_fp_ieee_inexact 0
		.amdhsa_exception_int_div_zero 0
	.end_amdhsa_kernel
	.text
.Lfunc_end0:
	.size	bluestein_single_back_len357_dim1_dp_op_CI_CI, .Lfunc_end0-bluestein_single_back_len357_dim1_dp_op_CI_CI
                                        ; -- End function
	.section	.AMDGPU.csdata,"",@progbits
; Kernel info:
; codeLenInByte = 42020
; NumSgprs: 62
; NumVgprs: 256
; ScratchSize: 1012
; MemoryBound: 0
; FloatMode: 240
; IeeeMode: 1
; LDSByteSize: 62832 bytes/workgroup (compile time only)
; SGPRBlocks: 7
; VGPRBlocks: 31
; NumSGPRsForWavesPerEU: 62
; NumVGPRsForWavesPerEU: 256
; Occupancy: 3
; WaveLimiterHint : 1
; COMPUTE_PGM_RSRC2:SCRATCH_EN: 1
; COMPUTE_PGM_RSRC2:USER_SGPR: 2
; COMPUTE_PGM_RSRC2:TRAP_HANDLER: 0
; COMPUTE_PGM_RSRC2:TGID_X_EN: 1
; COMPUTE_PGM_RSRC2:TGID_Y_EN: 0
; COMPUTE_PGM_RSRC2:TGID_Z_EN: 0
; COMPUTE_PGM_RSRC2:TIDIG_COMP_CNT: 0
	.text
	.p2alignl 7, 3214868480
	.fill 96, 4, 3214868480
	.type	__hip_cuid_9f59aa102457b9a2,@object ; @__hip_cuid_9f59aa102457b9a2
	.section	.bss,"aw",@nobits
	.globl	__hip_cuid_9f59aa102457b9a2
__hip_cuid_9f59aa102457b9a2:
	.byte	0                               ; 0x0
	.size	__hip_cuid_9f59aa102457b9a2, 1

	.ident	"AMD clang version 19.0.0git (https://github.com/RadeonOpenCompute/llvm-project roc-6.4.0 25133 c7fe45cf4b819c5991fe208aaa96edf142730f1d)"
	.section	".note.GNU-stack","",@progbits
	.addrsig
	.addrsig_sym __hip_cuid_9f59aa102457b9a2
	.amdgpu_metadata
---
amdhsa.kernels:
  - .args:
      - .actual_access:  read_only
        .address_space:  global
        .offset:         0
        .size:           8
        .value_kind:     global_buffer
      - .actual_access:  read_only
        .address_space:  global
        .offset:         8
        .size:           8
        .value_kind:     global_buffer
      - .actual_access:  read_only
        .address_space:  global
        .offset:         16
        .size:           8
        .value_kind:     global_buffer
      - .actual_access:  read_only
        .address_space:  global
        .offset:         24
        .size:           8
        .value_kind:     global_buffer
      - .actual_access:  read_only
        .address_space:  global
        .offset:         32
        .size:           8
        .value_kind:     global_buffer
      - .offset:         40
        .size:           8
        .value_kind:     by_value
      - .address_space:  global
        .offset:         48
        .size:           8
        .value_kind:     global_buffer
      - .address_space:  global
        .offset:         56
        .size:           8
        .value_kind:     global_buffer
      - .address_space:  global
        .offset:         64
        .size:           8
        .value_kind:     global_buffer
      - .address_space:  global
        .offset:         72
        .size:           8
        .value_kind:     global_buffer
      - .offset:         80
        .size:           4
        .value_kind:     by_value
      - .address_space:  global
        .offset:         88
        .size:           8
        .value_kind:     global_buffer
      - .address_space:  global
        .offset:         96
        .size:           8
        .value_kind:     global_buffer
    .group_segment_fixed_size: 62832
    .kernarg_segment_align: 8
    .kernarg_segment_size: 104
    .language:       OpenCL C
    .language_version:
      - 2
      - 0
    .max_flat_workgroup_size: 187
    .name:           bluestein_single_back_len357_dim1_dp_op_CI_CI
    .private_segment_fixed_size: 1012
    .sgpr_count:     62
    .sgpr_spill_count: 0
    .symbol:         bluestein_single_back_len357_dim1_dp_op_CI_CI.kd
    .uniform_work_group_size: 1
    .uses_dynamic_stack: false
    .vgpr_count:     256
    .vgpr_spill_count: 410
    .wavefront_size: 32
    .workgroup_processor_mode: 1
amdhsa.target:   amdgcn-amd-amdhsa--gfx1201
amdhsa.version:
  - 1
  - 2
...

	.end_amdgpu_metadata
